;; amdgpu-corpus repo=ROCm/rocFFT kind=compiled arch=gfx90a opt=O3
	.text
	.amdgcn_target "amdgcn-amd-amdhsa--gfx90a"
	.amdhsa_code_object_version 6
	.protected	bluestein_single_back_len17_dim1_dp_op_CI_CI ; -- Begin function bluestein_single_back_len17_dim1_dp_op_CI_CI
	.globl	bluestein_single_back_len17_dim1_dp_op_CI_CI
	.p2align	8
	.type	bluestein_single_back_len17_dim1_dp_op_CI_CI,@function
bluestein_single_back_len17_dim1_dp_op_CI_CI: ; @bluestein_single_back_len17_dim1_dp_op_CI_CI
; %bb.0:
	s_load_dwordx4 s[0:3], s[4:5], 0x28
	s_mulk_i32 s6, 0x78
	v_add_u32_e32 v0, s6, v0
	v_mov_b32_e32 v1, 0
	s_movk_i32 s7, 0x78
	s_waitcnt lgkmcnt(0)
	v_cmp_gt_u64_e32 vcc, s[0:1], v[0:1]
	s_and_saveexec_b64 s[0:1], vcc
	s_cbranch_execz .LBB0_2
; %bb.1:
	s_load_dwordx2 s[26:27], s[4:5], 0x0
	s_load_dwordx4 s[8:11], s[4:5], 0x18
	s_load_dwordx2 s[0:1], s[4:5], 0x38
                                        ; implicit-def: $vgpr137 : SGPR spill to VGPR lane
                                        ; kill: killed $sgpr4_sgpr5
	v_mov_b32_e32 v128, 0x50
	v_mov_b32_e32 v130, 0x60
	s_waitcnt lgkmcnt(0)
	s_load_dwordx16 s[36:51], s[26:27], 0x0
	s_load_dwordx4 s[68:71], s[8:9], 0x0
	v_writelane_b32 v137, s0, 0
	v_writelane_b32 v137, s1, 1
	s_mov_b32 s0, 0x88888889
	v_mul_hi_u32 v1, v0, s0
	v_lshrrev_b32_e32 v1, 6, v1
	v_mul_lo_u32 v1, v1, s7
	s_load_dwordx4 s[4:7], s[10:11], 0x0
	v_sub_u32_e32 v8, v0, v1
	v_mul_u32_u24_e32 v126, 0x110, v8
	v_mov_b32_e32 v127, 0x70
	v_mov_b32_e32 v131, 0x90
	s_waitcnt lgkmcnt(0)
	v_writelane_b32 v137, s4, 2
	v_mad_u64_u32 v[68:69], s[0:1], s6, v0, 0
	v_mov_b32_e32 v2, v69
	v_mad_u64_u32 v[2:3], s[0:1], s7, v0, v[2:3]
	v_mov_b32_e32 v69, v2
	;; [unrolled: 2-line block ×4, first 2 shown]
	v_lshlrev_b64 v[0:1], 4, v[2:3]
	v_add_co_u32_e32 v0, vcc, s2, v0
	v_mov_b32_e32 v2, s3
	v_addc_co_u32_e32 v1, vcc, v2, v1, vcc
	global_load_dwordx4 v[2:5], v[0:1], off
	s_lshl_b64 s[0:1], s[68:69], 4
	v_writelane_b32 v137, s5, 3
	v_writelane_b32 v137, s6, 4
	;; [unrolled: 1-line block ×3, first 2 shown]
	v_mov_b32_e32 v132, 0xa0
	v_mov_b32_e32 v129, 0xb0
	;; [unrolled: 1-line block ×3, first 2 shown]
	s_load_dwordx16 s[52:67], s[26:27], 0xc0
	v_mov_b32_e32 v135, 0xd0
	v_mov_b32_e32 v136, 0xe0
	v_mov_b32_e32 v133, 0xf0
	s_mov_b32 s34, 0x7c9e640b
	s_mov_b32 s84, 0x923c349f
	;; [unrolled: 1-line block ×24, first 2 shown]
	s_waitcnt vmcnt(0)
	v_mul_f64 v[6:7], v[4:5], s[38:39]
	v_fmac_f64_e32 v[6:7], s[36:37], v[2:3]
	v_mul_f64 v[2:3], v[2:3], s[38:39]
	v_fma_f64 v[8:9], v[4:5], s[36:37], -v[2:3]
	v_add_co_u32_e32 v2, vcc, s0, v0
	v_mov_b32_e32 v3, s1
	v_addc_co_u32_e32 v3, vcc, v1, v3, vcc
	global_load_dwordx4 v[2:5], v[2:3], off
	ds_write_b128 v126, v[6:9]
	s_lshl_b64 s[0:1], s[68:69], 5
	s_waitcnt vmcnt(0)
	v_mul_f64 v[6:7], v[4:5], s[42:43]
	v_fmac_f64_e32 v[6:7], s[40:41], v[2:3]
	v_mul_f64 v[2:3], v[2:3], s[42:43]
	v_fma_f64 v[8:9], v[4:5], s[40:41], -v[2:3]
	v_add_co_u32_e32 v2, vcc, s0, v0
	v_mov_b32_e32 v3, s1
	v_addc_co_u32_e32 v3, vcc, v1, v3, vcc
	global_load_dwordx4 v[2:5], v[2:3], off
	ds_write_b128 v126, v[6:9] offset:16
	s_waitcnt vmcnt(0)
	v_mul_f64 v[6:7], v[4:5], s[46:47]
	v_fmac_f64_e32 v[6:7], s[44:45], v[2:3]
	v_mul_f64 v[2:3], v[2:3], s[46:47]
	v_fma_f64 v[8:9], v[4:5], s[44:45], -v[2:3]
	v_mad_u64_u32 v[2:3], s[0:1], s68, 48, v[0:1]
	v_mov_b32_e32 v4, v3
	v_mad_u64_u32 v[4:5], s[0:1], s69, 48, v[4:5]
	v_mov_b32_e32 v3, v4
	global_load_dwordx4 v[2:5], v[2:3], off
	ds_write_b128 v126, v[6:9] offset:32
	s_lshl_b64 s[0:1], s[68:69], 6
	s_waitcnt vmcnt(0)
	v_mul_f64 v[6:7], v[4:5], s[50:51]
	v_fmac_f64_e32 v[6:7], s[48:49], v[2:3]
	v_mul_f64 v[2:3], v[2:3], s[50:51]
	v_fma_f64 v[8:9], v[4:5], s[48:49], -v[2:3]
	v_add_co_u32_e32 v2, vcc, s0, v0
	v_mov_b32_e32 v3, s1
	v_addc_co_u32_e32 v3, vcc, v1, v3, vcc
	global_load_dwordx4 v[2:5], v[2:3], off
	s_load_dwordx16 s[0:15], s[26:27], 0x40
	ds_write_b128 v126, v[6:9] offset:48
	s_waitcnt lgkmcnt(0)
	s_mov_b64 s[18:19], s[14:15]
	s_mov_b64 s[16:17], s[12:13]
	s_mov_b64 s[14:15], s[10:11]
	s_mov_b64 s[12:13], s[8:9]
	s_mov_b64 s[10:11], s[6:7]
	s_mov_b64 s[8:9], s[4:5]
	s_mov_b64 s[6:7], s[2:3]
	s_mov_b64 s[4:5], s[0:1]
	s_waitcnt vmcnt(0)
	v_mul_f64 v[6:7], v[4:5], s[2:3]
	v_fmac_f64_e32 v[6:7], s[0:1], v[2:3]
	v_mul_f64 v[2:3], v[2:3], s[2:3]
	v_fma_f64 v[8:9], v[4:5], s[0:1], -v[2:3]
	v_mad_u64_u32 v[2:3], s[0:1], s68, v128, v[0:1]
	s_mul_i32 s0, s69, 0x50
	v_add_u32_e32 v3, s0, v3
	global_load_dwordx4 v[2:5], v[2:3], off
	ds_write_b128 v126, v[6:9] offset:64
	s_waitcnt vmcnt(0)
	v_mul_f64 v[6:7], v[4:5], s[10:11]
	v_fmac_f64_e32 v[6:7], s[8:9], v[2:3]
	v_mul_f64 v[2:3], v[2:3], s[10:11]
	v_fma_f64 v[8:9], v[4:5], s[8:9], -v[2:3]
	v_mad_u64_u32 v[2:3], s[0:1], s68, v130, v[0:1]
	s_mul_i32 s0, s69, 0x60
	v_add_u32_e32 v3, s0, v3
	global_load_dwordx4 v[2:5], v[2:3], off
	ds_write_b128 v126, v[6:9] offset:80
	s_waitcnt vmcnt(0)
	v_mul_f64 v[6:7], v[4:5], s[14:15]
	v_fmac_f64_e32 v[6:7], s[12:13], v[2:3]
	v_mul_f64 v[2:3], v[2:3], s[14:15]
	v_fma_f64 v[8:9], v[4:5], s[12:13], -v[2:3]
	v_mad_u64_u32 v[2:3], s[0:1], s68, v127, v[0:1]
	s_mul_i32 s0, s69, 0x70
	v_add_u32_e32 v3, s0, v3
	global_load_dwordx4 v[2:5], v[2:3], off
	ds_write_b128 v126, v[6:9] offset:96
	v_writelane_b32 v137, s4, 6
	s_lshl_b64 s[0:1], s[68:69], 7
	v_writelane_b32 v137, s5, 7
	v_writelane_b32 v137, s6, 8
	;; [unrolled: 1-line block ×15, first 2 shown]
	s_waitcnt vmcnt(0)
	v_mul_f64 v[6:7], v[4:5], s[18:19]
	v_fmac_f64_e32 v[6:7], s[16:17], v[2:3]
	v_mul_f64 v[2:3], v[2:3], s[18:19]
	v_fma_f64 v[8:9], v[4:5], s[16:17], -v[2:3]
	v_add_co_u32_e32 v2, vcc, s0, v0
	v_mov_b32_e32 v3, s1
	v_addc_co_u32_e32 v3, vcc, v1, v3, vcc
	global_load_dwordx4 v[2:5], v[2:3], off
	s_load_dwordx16 s[0:15], s[26:27], 0x80
	ds_write_b128 v126, v[6:9] offset:112
	s_waitcnt lgkmcnt(0)
	s_mov_b64 s[18:19], s[14:15]
	s_mov_b64 s[16:17], s[12:13]
	s_mov_b64 s[14:15], s[10:11]
	s_mov_b64 s[12:13], s[8:9]
	s_mov_b64 s[10:11], s[6:7]
	s_mov_b64 s[8:9], s[4:5]
	s_mov_b64 s[6:7], s[2:3]
	s_mov_b64 s[4:5], s[0:1]
	s_waitcnt vmcnt(0)
	v_mul_f64 v[6:7], v[4:5], s[2:3]
	v_fmac_f64_e32 v[6:7], s[0:1], v[2:3]
	v_mul_f64 v[2:3], v[2:3], s[2:3]
	v_fma_f64 v[8:9], v[4:5], s[0:1], -v[2:3]
	v_mad_u64_u32 v[2:3], s[0:1], s68, v131, v[0:1]
	s_mul_i32 s0, s69, 0x90
	v_add_u32_e32 v3, s0, v3
	global_load_dwordx4 v[2:5], v[2:3], off
	ds_write_b128 v126, v[6:9] offset:128
	s_mov_b32 s2, 0x370991
	s_mov_b32 s3, 0x3fedd6d0
	s_waitcnt vmcnt(0)
	v_mul_f64 v[6:7], v[4:5], s[10:11]
	v_fmac_f64_e32 v[6:7], s[8:9], v[2:3]
	v_mul_f64 v[2:3], v[2:3], s[10:11]
	v_fma_f64 v[8:9], v[4:5], s[8:9], -v[2:3]
	v_mad_u64_u32 v[2:3], s[0:1], s68, v132, v[0:1]
	s_mul_i32 s0, s69, 0xa0
	v_add_u32_e32 v3, s0, v3
	global_load_dwordx4 v[2:5], v[2:3], off
	ds_write_b128 v126, v[6:9] offset:144
	s_waitcnt vmcnt(0)
	v_mul_f64 v[6:7], v[4:5], s[14:15]
	v_fmac_f64_e32 v[6:7], s[12:13], v[2:3]
	v_mul_f64 v[2:3], v[2:3], s[14:15]
	v_fma_f64 v[8:9], v[4:5], s[12:13], -v[2:3]
	v_mad_u64_u32 v[2:3], s[0:1], s68, v129, v[0:1]
	s_mul_i32 s0, s69, 0xb0
	v_add_u32_e32 v3, s0, v3
	global_load_dwordx4 v[2:5], v[2:3], off
	ds_write_b128 v126, v[6:9] offset:160
	v_writelane_b32 v137, s4, 22
	v_writelane_b32 v137, s5, 23
	;; [unrolled: 1-line block ×16, first 2 shown]
	s_mov_b32 s4, 0x2a9d6da3
	s_mov_b32 s5, 0xbfe58eea
	;; [unrolled: 1-line block ×12, first 2 shown]
	s_waitcnt vmcnt(0)
	v_mul_f64 v[6:7], v[4:5], s[18:19]
	v_fmac_f64_e32 v[6:7], s[16:17], v[2:3]
	v_mul_f64 v[2:3], v[2:3], s[18:19]
	v_fma_f64 v[8:9], v[4:5], s[16:17], -v[2:3]
	v_mad_u64_u32 v[2:3], s[0:1], s68, v134, v[0:1]
	s_mul_i32 s0, s69, 0xc0
	v_add_u32_e32 v3, s0, v3
	global_load_dwordx4 v[2:5], v[2:3], off
	ds_write_b128 v126, v[6:9] offset:176
	s_mov_b32 s18, 0x5d8e7cdc
	s_mov_b32 s19, 0xbfd71e95
	;; [unrolled: 1-line block ×4, first 2 shown]
	s_waitcnt vmcnt(0)
	v_mul_f64 v[6:7], v[4:5], s[54:55]
	v_fmac_f64_e32 v[6:7], s[52:53], v[2:3]
	v_mul_f64 v[2:3], v[2:3], s[54:55]
	v_fma_f64 v[8:9], v[4:5], s[52:53], -v[2:3]
	v_mad_u64_u32 v[2:3], s[0:1], s68, v135, v[0:1]
	s_mul_i32 s0, s69, 0xd0
	v_add_u32_e32 v3, s0, v3
	global_load_dwordx4 v[2:5], v[2:3], off
	ds_write_b128 v126, v[6:9] offset:192
	s_waitcnt vmcnt(0)
	v_mul_f64 v[6:7], v[4:5], s[58:59]
	v_fmac_f64_e32 v[6:7], s[56:57], v[2:3]
	v_mul_f64 v[2:3], v[2:3], s[58:59]
	v_fma_f64 v[8:9], v[4:5], s[56:57], -v[2:3]
	v_mad_u64_u32 v[2:3], s[0:1], s68, v136, v[0:1]
	s_mul_i32 s0, s69, 0xe0
	v_add_u32_e32 v3, s0, v3
	global_load_dwordx4 v[2:5], v[2:3], off
	ds_write_b128 v126, v[6:9] offset:208
	;; [unrolled: 10-line block ×3, first 2 shown]
	s_lshl_b64 s[0:1], s[68:69], 8
	v_add_co_u32_e32 v0, vcc, s0, v0
	s_load_dwordx16 s[68:83], s[26:27], 0x100
	s_waitcnt vmcnt(0)
	v_mul_f64 v[6:7], v[4:5], s[66:67]
	v_fmac_f64_e32 v[6:7], s[64:65], v[2:3]
	v_mul_f64 v[2:3], v[2:3], s[66:67]
	v_fma_f64 v[8:9], v[4:5], s[64:65], -v[2:3]
	v_mov_b32_e32 v2, s1
	v_addc_co_u32_e32 v1, vcc, v1, v2, vcc
	global_load_dwordx4 v[0:3], v[0:1], off
	ds_write_b128 v126, v[6:9] offset:240
	s_mov_b32 s0, 0xeb564b22
	s_mov_b32 s1, 0xbfefdd0d
	s_mov_b32 vcc_lo, 0xc61f0d01
	s_mov_b32 vcc_hi, 0xbfd183b1
	s_waitcnt vmcnt(0) lgkmcnt(0)
	v_mul_f64 v[4:5], v[2:3], s[70:71]
	v_fmac_f64_e32 v[4:5], s[68:69], v[0:1]
	v_mul_f64 v[0:1], v[0:1], s[70:71]
	v_fma_f64 v[6:7], v[2:3], s[68:69], -v[0:1]
	ds_write_b128 v126, v[4:7] offset:256
	s_waitcnt lgkmcnt(0)
	s_barrier
	ds_read_b128 v[52:55], v126
	ds_read_b128 v[60:63], v126 offset:16
	ds_read_b128 v[48:51], v126 offset:32
	;; [unrolled: 1-line block ×16, first 2 shown]
	s_waitcnt lgkmcnt(14)
	v_add_f64 v[0:1], v[52:53], v[60:61]
	v_add_f64 v[2:3], v[54:55], v[62:63]
	;; [unrolled: 1-line block ×4, first 2 shown]
	s_waitcnt lgkmcnt(13)
	v_add_f64 v[0:1], v[0:1], v[40:41]
	v_add_f64 v[2:3], v[2:3], v[42:43]
	s_waitcnt lgkmcnt(12)
	v_add_f64 v[0:1], v[0:1], v[36:37]
	v_add_f64 v[2:3], v[2:3], v[38:39]
	;; [unrolled: 3-line block ×12, first 2 shown]
	s_waitcnt lgkmcnt(1)
	v_add_f64 v[0:1], v[0:1], v[64:65]
	s_waitcnt lgkmcnt(0)
	v_add_f64 v[76:77], v[62:63], v[72:73]
	v_add_f64 v[62:63], v[62:63], -v[72:73]
	v_add_f64 v[2:3], v[2:3], v[66:67]
	v_add_f64 v[0:1], v[0:1], v[70:71]
	;; [unrolled: 1-line block ×3, first 2 shown]
	v_add_f64 v[60:61], v[60:61], -v[70:71]
	v_mul_f64 v[70:71], v[62:63], s[18:19]
	v_mul_f64 v[82:83], v[62:63], s[4:5]
	;; [unrolled: 1-line block ×8, first 2 shown]
	v_add_f64 v[2:3], v[2:3], v[72:73]
	v_fma_f64 v[72:73], v[74:75], s[2:3], -v[70:71]
	v_mul_f64 v[78:79], v[60:61], s[18:19]
	v_fmac_f64_e32 v[70:71], s[2:3], v[74:75]
	v_fma_f64 v[84:85], v[74:75], s[12:13], -v[82:83]
	v_mul_f64 v[86:87], v[60:61], s[4:5]
	v_fmac_f64_e32 v[82:83], s[12:13], v[74:75]
	;; [unrolled: 3-line block ×4, first 2 shown]
	v_fma_f64 v[108:109], v[74:75], vcc, -v[106:107]
	v_mul_f64 v[110:111], v[60:61], s[84:85]
	v_fmac_f64_e32 v[106:107], vcc, v[74:75]
	v_fma_f64 v[116:117], v[74:75], s[8:9], -v[114:115]
	v_mul_f64 v[118:119], v[60:61], s[86:87]
	v_fmac_f64_e32 v[114:115], s[8:9], v[74:75]
	v_fma_f64 v[124:125], v[74:75], s[6:7], -v[122:123]
	v_mul_f64 v[138:139], v[60:61], s[94:95]
	v_fmac_f64_e32 v[122:123], s[6:7], v[74:75]
	;; [unrolled: 3-line block ×3, first 2 shown]
	v_add_f64 v[72:73], v[52:53], v[72:73]
	v_fma_f64 v[80:81], s[2:3], v[76:77], v[78:79]
	v_add_f64 v[70:71], v[52:53], v[70:71]
	v_fma_f64 v[78:79], v[76:77], s[2:3], -v[78:79]
	v_add_f64 v[84:85], v[52:53], v[84:85]
	v_fma_f64 v[88:89], s[12:13], v[76:77], v[86:87]
	v_add_f64 v[82:83], v[52:53], v[82:83]
	v_fma_f64 v[86:87], v[76:77], s[12:13], -v[86:87]
	;; [unrolled: 4-line block ×4, first 2 shown]
	v_add_f64 v[108:109], v[52:53], v[108:109]
	v_fma_f64 v[112:113], vcc, v[76:77], v[110:111]
	v_add_f64 v[106:107], v[52:53], v[106:107]
	v_fma_f64 v[110:111], v[76:77], vcc, -v[110:111]
	v_add_f64 v[116:117], v[52:53], v[116:117]
	v_fma_f64 v[120:121], s[8:9], v[76:77], v[118:119]
	v_add_f64 v[114:115], v[52:53], v[114:115]
	v_fma_f64 v[118:119], v[76:77], s[8:9], -v[118:119]
	v_add_f64 v[124:125], v[52:53], v[124:125]
	v_fma_f64 v[140:141], s[6:7], v[76:77], v[138:139]
	v_add_f64 v[122:123], v[52:53], v[122:123]
	v_fma_f64 v[138:139], v[76:77], s[6:7], -v[138:139]
	;; [unrolled: 4-line block ×3, first 2 shown]
	v_add_f64 v[62:63], v[50:51], v[66:67]
	v_add_f64 v[50:51], v[50:51], -v[66:67]
	v_add_f64 v[80:81], v[54:55], v[80:81]
	v_add_f64 v[78:79], v[54:55], v[78:79]
	v_add_f64 v[88:89], v[54:55], v[88:89]
	v_add_f64 v[86:87], v[54:55], v[86:87]
	v_add_f64 v[96:97], v[54:55], v[96:97]
	v_add_f64 v[94:95], v[54:55], v[94:95]
	v_add_f64 v[104:105], v[54:55], v[104:105]
	v_add_f64 v[102:103], v[54:55], v[102:103]
	v_add_f64 v[112:113], v[54:55], v[112:113]
	v_add_f64 v[110:111], v[54:55], v[110:111]
	v_add_f64 v[120:121], v[54:55], v[120:121]
	v_add_f64 v[118:119], v[54:55], v[118:119]
	v_add_f64 v[140:141], v[54:55], v[140:141]
	v_add_f64 v[138:139], v[54:55], v[138:139]
	v_add_f64 v[144:145], v[54:55], v[144:145]
	v_add_f64 v[54:55], v[54:55], v[60:61]
	v_add_f64 v[60:61], v[48:49], v[64:65]
	v_add_f64 v[48:49], v[48:49], -v[64:65]
	v_mul_f64 v[64:65], v[50:51], s[4:5]
	v_fma_f64 v[66:67], v[60:61], s[12:13], -v[64:65]
	v_add_f64 v[66:67], v[66:67], v[72:73]
	v_mul_f64 v[72:73], v[48:49], s[4:5]
	v_fmac_f64_e32 v[64:65], s[12:13], v[60:61]
	v_fma_f64 v[74:75], s[12:13], v[62:63], v[72:73]
	v_add_f64 v[64:65], v[64:65], v[70:71]
	v_fma_f64 v[70:71], v[62:63], s[12:13], -v[72:73]
	v_mul_f64 v[72:73], v[50:51], s[0:1]
	v_add_f64 v[70:71], v[70:71], v[78:79]
	v_fma_f64 v[76:77], v[60:61], s[90:91], -v[72:73]
	v_mul_f64 v[78:79], v[48:49], s[0:1]
	v_fmac_f64_e32 v[72:73], s[90:91], v[60:61]
	v_add_f64 v[74:75], v[74:75], v[80:81]
	v_fma_f64 v[80:81], s[90:91], v[62:63], v[78:79]
	v_add_f64 v[72:73], v[72:73], v[82:83]
	v_fma_f64 v[78:79], v[62:63], s[90:91], -v[78:79]
	v_mul_f64 v[82:83], v[50:51], s[86:87]
	v_add_f64 v[76:77], v[76:77], v[84:85]
	v_add_f64 v[78:79], v[78:79], v[86:87]
	v_fma_f64 v[84:85], v[60:61], s[8:9], -v[82:83]
	v_mul_f64 v[86:87], v[48:49], s[86:87]
	v_fmac_f64_e32 v[82:83], s[8:9], v[60:61]
	v_add_f64 v[80:81], v[80:81], v[88:89]
	v_fma_f64 v[88:89], s[8:9], v[62:63], v[86:87]
	v_add_f64 v[82:83], v[82:83], v[90:91]
	v_fma_f64 v[86:87], v[62:63], s[8:9], -v[86:87]
	v_mul_f64 v[90:91], v[50:51], s[28:29]
	v_add_f64 v[84:85], v[84:85], v[92:93]
	;; [unrolled: 10-line block ×4, first 2 shown]
	v_add_f64 v[102:103], v[102:103], v[110:111]
	v_fma_f64 v[108:109], v[60:61], vcc, -v[106:107]
	v_mul_f64 v[110:111], v[48:49], s[24:25]
	v_fmac_f64_e32 v[106:107], vcc, v[60:61]
	v_add_f64 v[104:105], v[104:105], v[112:113]
	v_fma_f64 v[112:113], vcc, v[62:63], v[110:111]
	v_add_f64 v[106:107], v[106:107], v[114:115]
	v_fma_f64 v[110:111], v[62:63], vcc, -v[110:111]
	v_mul_f64 v[114:115], v[50:51], s[20:21]
	v_add_f64 v[108:109], v[108:109], v[116:117]
	v_add_f64 v[110:111], v[110:111], v[118:119]
	v_fma_f64 v[116:117], v[60:61], s[14:15], -v[114:115]
	v_mul_f64 v[118:119], v[48:49], s[20:21]
	v_mul_f64 v[48:49], v[48:49], s[16:17]
	v_add_f64 v[116:117], v[116:117], v[124:125]
	v_fmac_f64_e32 v[114:115], s[14:15], v[60:61]
	v_mul_f64 v[50:51], v[50:51], s[16:17]
	v_fma_f64 v[124:125], s[2:3], v[62:63], v[48:49]
	v_fma_f64 v[48:49], v[62:63], s[2:3], -v[48:49]
	v_add_f64 v[114:115], v[114:115], v[122:123]
	v_fma_f64 v[122:123], v[60:61], s[2:3], -v[50:51]
	v_fmac_f64_e32 v[50:51], s[2:3], v[60:61]
	v_add_f64 v[48:49], v[48:49], v[54:55]
	v_add_f64 v[54:55], v[42:43], v[58:59]
	v_add_f64 v[42:43], v[42:43], -v[58:59]
	v_add_f64 v[50:51], v[50:51], v[52:53]
	v_add_f64 v[52:53], v[40:41], v[56:57]
	v_add_f64 v[40:41], v[40:41], -v[56:57]
	v_mul_f64 v[56:57], v[42:43], s[34:35]
	v_fma_f64 v[58:59], v[52:53], s[14:15], -v[56:57]
	v_fmac_f64_e32 v[56:57], s[14:15], v[52:53]
	v_mul_f64 v[60:61], v[40:41], s[34:35]
	v_add_f64 v[56:57], v[56:57], v[64:65]
	v_mul_f64 v[64:65], v[42:43], s[86:87]
	v_add_f64 v[112:113], v[112:113], v[120:121]
	v_fma_f64 v[120:121], s[14:15], v[62:63], v[118:119]
	v_fma_f64 v[118:119], v[62:63], s[14:15], -v[118:119]
	v_add_f64 v[58:59], v[58:59], v[66:67]
	v_fma_f64 v[62:63], s[14:15], v[54:55], v[60:61]
	v_fma_f64 v[60:61], v[54:55], s[14:15], -v[60:61]
	v_fma_f64 v[66:67], v[52:53], s[8:9], -v[64:65]
	v_fmac_f64_e32 v[64:65], s[8:9], v[52:53]
	v_add_f64 v[60:61], v[60:61], v[70:71]
	v_mul_f64 v[70:71], v[40:41], s[86:87]
	v_add_f64 v[64:65], v[64:65], v[72:73]
	v_mul_f64 v[72:73], v[42:43], s[88:89]
	v_add_f64 v[62:63], v[62:63], v[74:75]
	v_add_f64 v[66:67], v[66:67], v[76:77]
	v_fma_f64 v[74:75], s[8:9], v[54:55], v[70:71]
	v_fma_f64 v[70:71], v[54:55], s[8:9], -v[70:71]
	v_fma_f64 v[76:77], v[52:53], s[22:23], -v[72:73]
	v_fmac_f64_e32 v[72:73], s[22:23], v[52:53]
	v_add_f64 v[70:71], v[70:71], v[78:79]
	v_mul_f64 v[78:79], v[40:41], s[88:89]
	v_add_f64 v[72:73], v[72:73], v[82:83]
	v_mul_f64 v[82:83], v[42:43], s[24:25]
	v_add_f64 v[74:75], v[74:75], v[80:81]
	v_add_f64 v[76:77], v[76:77], v[84:85]
	v_fma_f64 v[80:81], s[22:23], v[54:55], v[78:79]
	v_fma_f64 v[78:79], v[54:55], s[22:23], -v[78:79]
	v_fma_f64 v[84:85], v[52:53], vcc, -v[82:83]
	v_fmac_f64_e32 v[82:83], vcc, v[52:53]
	v_add_f64 v[78:79], v[78:79], v[86:87]
	v_mul_f64 v[86:87], v[40:41], s[24:25]
	v_add_f64 v[82:83], v[82:83], v[90:91]
	v_mul_f64 v[90:91], v[42:43], s[10:11]
	v_add_f64 v[80:81], v[80:81], v[88:89]
	v_add_f64 v[84:85], v[84:85], v[92:93]
	v_fma_f64 v[88:89], vcc, v[54:55], v[86:87]
	v_fma_f64 v[86:87], v[54:55], vcc, -v[86:87]
	v_fma_f64 v[92:93], v[52:53], s[12:13], -v[90:91]
	v_fmac_f64_e32 v[90:91], s[12:13], v[52:53]
	v_add_f64 v[86:87], v[86:87], v[94:95]
	v_mul_f64 v[94:95], v[40:41], s[10:11]
	v_add_f64 v[90:91], v[90:91], v[98:99]
	v_mul_f64 v[98:99], v[42:43], s[18:19]
	v_add_f64 v[88:89], v[88:89], v[96:97]
	v_add_f64 v[92:93], v[92:93], v[100:101]
	v_fma_f64 v[96:97], s[12:13], v[54:55], v[94:95]
	v_fma_f64 v[94:95], v[54:55], s[12:13], -v[94:95]
	v_fma_f64 v[100:101], v[52:53], s[2:3], -v[98:99]
	v_fmac_f64_e32 v[98:99], s[2:3], v[52:53]
	v_add_f64 v[94:95], v[94:95], v[102:103]
	v_mul_f64 v[102:103], v[40:41], s[18:19]
	v_add_f64 v[98:99], v[98:99], v[106:107]
	v_mul_f64 v[106:107], v[42:43], s[0:1]
	v_add_f64 v[96:97], v[96:97], v[104:105]
	v_add_f64 v[100:101], v[100:101], v[108:109]
	v_fma_f64 v[104:105], s[2:3], v[54:55], v[102:103]
	v_fma_f64 v[102:103], v[54:55], s[2:3], -v[102:103]
	v_fma_f64 v[108:109], v[52:53], s[90:91], -v[106:107]
	v_fmac_f64_e32 v[106:107], s[90:91], v[52:53]
	v_mul_f64 v[42:43], v[42:43], s[94:95]
	v_add_f64 v[102:103], v[102:103], v[110:111]
	v_mul_f64 v[110:111], v[40:41], s[0:1]
	v_add_f64 v[106:107], v[106:107], v[114:115]
	v_fma_f64 v[114:115], v[52:53], s[6:7], -v[42:43]
	v_mul_f64 v[40:41], v[40:41], s[94:95]
	v_fmac_f64_e32 v[42:43], s[6:7], v[52:53]
	v_add_f64 v[108:109], v[108:109], v[116:117]
	v_fma_f64 v[116:117], s[6:7], v[54:55], v[40:41]
	v_add_f64 v[42:43], v[42:43], v[50:51]
	v_fma_f64 v[40:41], v[54:55], s[6:7], -v[40:41]
	v_add_f64 v[50:51], v[38:39], v[46:47]
	v_add_f64 v[38:39], v[38:39], -v[46:47]
	v_add_f64 v[40:41], v[40:41], v[48:49]
	v_add_f64 v[48:49], v[36:37], v[44:45]
	v_add_f64 v[36:37], v[36:37], -v[44:45]
	v_mul_f64 v[44:45], v[38:39], s[0:1]
	v_fma_f64 v[46:47], v[48:49], s[90:91], -v[44:45]
	v_fmac_f64_e32 v[44:45], s[90:91], v[48:49]
	v_mul_f64 v[52:53], v[36:37], s[0:1]
	v_add_f64 v[44:45], v[44:45], v[56:57]
	v_mul_f64 v[56:57], v[38:39], s[28:29]
	v_add_f64 v[104:105], v[104:105], v[112:113]
	v_fma_f64 v[112:113], s[90:91], v[54:55], v[110:111]
	v_fma_f64 v[110:111], v[54:55], s[90:91], -v[110:111]
	v_add_f64 v[46:47], v[46:47], v[58:59]
	v_fma_f64 v[54:55], s[90:91], v[50:51], v[52:53]
	v_fma_f64 v[52:53], v[50:51], s[90:91], -v[52:53]
	v_fma_f64 v[58:59], v[48:49], s[22:23], -v[56:57]
	v_fmac_f64_e32 v[56:57], s[22:23], v[48:49]
	v_add_f64 v[52:53], v[52:53], v[60:61]
	v_mul_f64 v[60:61], v[36:37], s[28:29]
	v_add_f64 v[56:57], v[56:57], v[64:65]
	v_mul_f64 v[64:65], v[38:39], s[24:25]
	v_add_f64 v[54:55], v[54:55], v[62:63]
	v_add_f64 v[58:59], v[58:59], v[66:67]
	v_fma_f64 v[62:63], s[22:23], v[50:51], v[60:61]
	v_fma_f64 v[60:61], v[50:51], s[22:23], -v[60:61]
	v_fma_f64 v[66:67], v[48:49], vcc, -v[64:65]
	v_fmac_f64_e32 v[64:65], vcc, v[48:49]
	v_add_f64 v[60:61], v[60:61], v[70:71]
	v_mul_f64 v[70:71], v[36:37], s[24:25]
	v_add_f64 v[64:65], v[64:65], v[72:73]
	v_mul_f64 v[72:73], v[38:39], s[16:17]
	v_add_f64 v[62:63], v[62:63], v[74:75]
	v_add_f64 v[66:67], v[66:67], v[76:77]
	v_fma_f64 v[74:75], vcc, v[50:51], v[70:71]
	v_fma_f64 v[70:71], v[50:51], vcc, -v[70:71]
	v_fma_f64 v[76:77], v[48:49], s[2:3], -v[72:73]
	v_fmac_f64_e32 v[72:73], s[2:3], v[48:49]
	v_add_f64 v[70:71], v[70:71], v[78:79]
	v_mul_f64 v[78:79], v[36:37], s[16:17]
	v_add_f64 v[72:73], v[72:73], v[82:83]
	v_mul_f64 v[82:83], v[38:39], s[34:35]
	v_add_f64 v[74:75], v[74:75], v[80:81]
	v_add_f64 v[76:77], v[76:77], v[84:85]
	v_fma_f64 v[80:81], s[2:3], v[50:51], v[78:79]
	v_fma_f64 v[78:79], v[50:51], s[2:3], -v[78:79]
	v_fma_f64 v[84:85], v[48:49], s[14:15], -v[82:83]
	v_fmac_f64_e32 v[82:83], s[14:15], v[48:49]
	v_add_f64 v[78:79], v[78:79], v[86:87]
	v_mul_f64 v[86:87], v[36:37], s[34:35]
	v_add_f64 v[82:83], v[82:83], v[90:91]
	v_mul_f64 v[90:91], v[38:39], s[94:95]
	v_add_f64 v[80:81], v[80:81], v[88:89]
	v_add_f64 v[84:85], v[84:85], v[92:93]
	v_fma_f64 v[88:89], s[14:15], v[50:51], v[86:87]
	v_fma_f64 v[86:87], v[50:51], s[14:15], -v[86:87]
	;; [unrolled: 10-line block ×3, first 2 shown]
	v_fma_f64 v[100:101], v[48:49], s[8:9], -v[98:99]
	v_fmac_f64_e32 v[98:99], s[8:9], v[48:49]
	v_mul_f64 v[38:39], v[38:39], s[10:11]
	v_add_f64 v[94:95], v[94:95], v[102:103]
	v_mul_f64 v[102:103], v[36:37], s[92:93]
	v_add_f64 v[98:99], v[98:99], v[106:107]
	v_fma_f64 v[106:107], v[48:49], s[12:13], -v[38:39]
	v_mul_f64 v[36:37], v[36:37], s[10:11]
	v_fmac_f64_e32 v[38:39], s[12:13], v[48:49]
	v_add_f64 v[100:101], v[100:101], v[108:109]
	v_fma_f64 v[108:109], s[12:13], v[50:51], v[36:37]
	v_add_f64 v[38:39], v[38:39], v[42:43]
	v_fma_f64 v[36:37], v[50:51], s[12:13], -v[36:37]
	v_add_f64 v[42:43], v[30:31], v[34:35]
	v_add_f64 v[30:31], v[30:31], -v[34:35]
	v_add_f64 v[36:37], v[36:37], v[40:41]
	v_add_f64 v[40:41], v[28:29], v[32:33]
	v_add_f64 v[28:29], v[28:29], -v[32:33]
	v_mul_f64 v[32:33], v[30:31], s[84:85]
	v_fma_f64 v[34:35], v[40:41], vcc, -v[32:33]
	v_add_f64 v[34:35], v[34:35], v[46:47]
	v_mul_f64 v[46:47], v[28:29], s[84:85]
	v_fmac_f64_e32 v[32:33], vcc, v[40:41]
	v_fma_f64 v[48:49], vcc, v[42:43], v[46:47]
	v_add_f64 v[32:33], v[32:33], v[44:45]
	v_fma_f64 v[44:45], v[42:43], vcc, -v[46:47]
	v_mul_f64 v[46:47], v[30:31], s[30:31]
	v_add_f64 v[96:97], v[96:97], v[104:105]
	v_fma_f64 v[104:105], s[8:9], v[50:51], v[102:103]
	v_fma_f64 v[102:103], v[50:51], s[8:9], -v[102:103]
	v_fma_f64 v[50:51], v[40:41], s[6:7], -v[46:47]
	v_fmac_f64_e32 v[46:47], s[6:7], v[40:41]
	v_add_f64 v[44:45], v[44:45], v[52:53]
	v_mul_f64 v[52:53], v[28:29], s[30:31]
	v_add_f64 v[46:47], v[46:47], v[56:57]
	v_mul_f64 v[56:57], v[30:31], s[10:11]
	v_add_f64 v[48:49], v[48:49], v[54:55]
	v_add_f64 v[50:51], v[50:51], v[58:59]
	v_fma_f64 v[54:55], s[6:7], v[42:43], v[52:53]
	v_fma_f64 v[52:53], v[42:43], s[6:7], -v[52:53]
	v_fma_f64 v[58:59], v[40:41], s[12:13], -v[56:57]
	v_fmac_f64_e32 v[56:57], s[12:13], v[40:41]
	v_add_f64 v[52:53], v[52:53], v[60:61]
	v_mul_f64 v[60:61], v[28:29], s[10:11]
	v_add_f64 v[56:57], v[56:57], v[64:65]
	v_mul_f64 v[64:65], v[30:31], s[34:35]
	v_add_f64 v[54:55], v[54:55], v[62:63]
	;; [unrolled: 10-line block ×3, first 2 shown]
	v_add_f64 v[66:67], v[66:67], v[76:77]
	v_fma_f64 v[74:75], s[14:15], v[42:43], v[70:71]
	v_fma_f64 v[70:71], v[42:43], s[14:15], -v[70:71]
	v_fma_f64 v[76:77], v[40:41], s[22:23], -v[72:73]
	v_fmac_f64_e32 v[72:73], s[22:23], v[40:41]
	s_mov_b32 s35, 0x3fefdd0d
	s_mov_b32 s34, s0
	v_add_f64 v[70:71], v[70:71], v[78:79]
	v_mul_f64 v[78:79], v[28:29], s[28:29]
	v_add_f64 v[72:73], v[72:73], v[82:83]
	v_mul_f64 v[82:83], v[30:31], s[34:35]
	v_add_f64 v[74:75], v[74:75], v[80:81]
	v_add_f64 v[76:77], v[76:77], v[84:85]
	v_fma_f64 v[80:81], s[22:23], v[42:43], v[78:79]
	v_fma_f64 v[78:79], v[42:43], s[22:23], -v[78:79]
	v_fma_f64 v[84:85], v[40:41], s[90:91], -v[82:83]
	v_fmac_f64_e32 v[82:83], s[90:91], v[40:41]
	v_add_f64 v[78:79], v[78:79], v[86:87]
	v_mul_f64 v[86:87], v[28:29], s[34:35]
	v_add_f64 v[82:83], v[82:83], v[90:91]
	v_mul_f64 v[90:91], v[30:31], s[18:19]
	v_add_f64 v[80:81], v[80:81], v[88:89]
	v_add_f64 v[84:85], v[84:85], v[92:93]
	v_fma_f64 v[88:89], s[90:91], v[42:43], v[86:87]
	v_fma_f64 v[86:87], v[42:43], s[90:91], -v[86:87]
	v_fma_f64 v[92:93], v[40:41], s[2:3], -v[90:91]
	v_fmac_f64_e32 v[90:91], s[2:3], v[40:41]
	v_mul_f64 v[30:31], v[30:31], s[86:87]
	v_add_f64 v[86:87], v[86:87], v[94:95]
	v_mul_f64 v[94:95], v[28:29], s[18:19]
	v_add_f64 v[90:91], v[90:91], v[98:99]
	v_fma_f64 v[98:99], v[40:41], s[8:9], -v[30:31]
	v_mul_f64 v[28:29], v[28:29], s[86:87]
	v_fmac_f64_e32 v[30:31], s[8:9], v[40:41]
	v_add_f64 v[92:93], v[92:93], v[100:101]
	v_fma_f64 v[100:101], s[8:9], v[42:43], v[28:29]
	v_add_f64 v[30:31], v[30:31], v[38:39]
	v_fma_f64 v[28:29], v[42:43], s[8:9], -v[28:29]
	v_add_f64 v[38:39], v[22:23], v[26:27]
	v_add_f64 v[22:23], v[22:23], -v[26:27]
	v_add_f64 v[28:29], v[28:29], v[36:37]
	v_add_f64 v[36:37], v[20:21], v[24:25]
	v_add_f64 v[20:21], v[20:21], -v[24:25]
	v_mul_f64 v[24:25], v[22:23], s[86:87]
	v_fma_f64 v[26:27], v[36:37], s[8:9], -v[24:25]
	v_add_f64 v[26:27], v[26:27], v[34:35]
	v_mul_f64 v[34:35], v[20:21], s[86:87]
	v_fmac_f64_e32 v[24:25], s[8:9], v[36:37]
	v_fma_f64 v[40:41], s[8:9], v[38:39], v[34:35]
	v_add_f64 v[24:25], v[24:25], v[32:33]
	v_fma_f64 v[32:33], v[38:39], s[8:9], -v[34:35]
	v_mul_f64 v[34:35], v[22:23], s[24:25]
	v_add_f64 v[88:89], v[88:89], v[96:97]
	v_fma_f64 v[96:97], s[2:3], v[42:43], v[94:95]
	v_fma_f64 v[94:95], v[42:43], s[2:3], -v[94:95]
	v_fma_f64 v[42:43], v[36:37], vcc, -v[34:35]
	v_fmac_f64_e32 v[34:35], vcc, v[36:37]
	v_add_f64 v[32:33], v[32:33], v[44:45]
	v_mul_f64 v[44:45], v[20:21], s[24:25]
	v_add_f64 v[34:35], v[34:35], v[46:47]
	v_mul_f64 v[46:47], v[22:23], s[18:19]
	v_add_f64 v[40:41], v[40:41], v[48:49]
	v_add_f64 v[42:43], v[42:43], v[50:51]
	v_fma_f64 v[48:49], vcc, v[38:39], v[44:45]
	v_fma_f64 v[44:45], v[38:39], vcc, -v[44:45]
	v_fma_f64 v[50:51], v[36:37], s[2:3], -v[46:47]
	v_fmac_f64_e32 v[46:47], s[2:3], v[36:37]
	v_add_f64 v[44:45], v[44:45], v[52:53]
	v_mul_f64 v[52:53], v[20:21], s[18:19]
	v_add_f64 v[46:47], v[46:47], v[56:57]
	v_mul_f64 v[56:57], v[22:23], s[94:95]
	v_add_f64 v[48:49], v[48:49], v[54:55]
	v_add_f64 v[50:51], v[50:51], v[58:59]
	v_fma_f64 v[54:55], s[2:3], v[38:39], v[52:53]
	v_fma_f64 v[52:53], v[38:39], s[2:3], -v[52:53]
	v_fma_f64 v[58:59], v[36:37], s[6:7], -v[56:57]
	v_fmac_f64_e32 v[56:57], s[6:7], v[36:37]
	v_add_f64 v[52:53], v[52:53], v[60:61]
	v_mul_f64 v[60:61], v[20:21], s[94:95]
	v_add_f64 v[56:57], v[56:57], v[64:65]
	v_mul_f64 v[64:65], v[22:23], s[34:35]
	v_add_f64 v[54:55], v[54:55], v[62:63]
	v_add_f64 v[58:59], v[58:59], v[66:67]
	v_fma_f64 v[62:63], s[6:7], v[38:39], v[60:61]
	v_fma_f64 v[60:61], v[38:39], s[6:7], -v[60:61]
	;; [unrolled: 10-line block ×4, first 2 shown]
	v_fma_f64 v[84:85], v[36:37], s[22:23], -v[82:83]
	v_fmac_f64_e32 v[82:83], s[22:23], v[36:37]
	v_mul_f64 v[22:23], v[22:23], s[20:21]
	v_add_f64 v[78:79], v[78:79], v[86:87]
	v_mul_f64 v[86:87], v[20:21], s[28:29]
	v_add_f64 v[82:83], v[82:83], v[90:91]
	v_fma_f64 v[90:91], v[36:37], s[14:15], -v[22:23]
	v_mul_f64 v[20:21], v[20:21], s[20:21]
	v_fmac_f64_e32 v[22:23], s[14:15], v[36:37]
	v_add_f64 v[84:85], v[84:85], v[92:93]
	v_fma_f64 v[92:93], s[14:15], v[38:39], v[20:21]
	v_add_f64 v[22:23], v[22:23], v[30:31]
	v_fma_f64 v[20:21], v[38:39], s[14:15], -v[20:21]
	v_add_f64 v[30:31], v[14:15], v[18:19]
	v_add_f64 v[14:15], v[14:15], -v[18:19]
	v_add_f64 v[20:21], v[20:21], v[28:29]
	v_add_f64 v[28:29], v[12:13], v[16:17]
	v_add_f64 v[12:13], v[12:13], -v[16:17]
	v_mul_f64 v[16:17], v[14:15], s[94:95]
	v_fma_f64 v[18:19], v[28:29], s[6:7], -v[16:17]
	v_add_f64 v[18:19], v[18:19], v[26:27]
	v_mul_f64 v[26:27], v[12:13], s[94:95]
	v_fmac_f64_e32 v[16:17], s[6:7], v[28:29]
	v_fma_f64 v[36:37], s[6:7], v[30:31], v[26:27]
	v_add_f64 v[16:17], v[16:17], v[24:25]
	v_fma_f64 v[24:25], v[30:31], s[6:7], -v[26:27]
	v_mul_f64 v[26:27], v[14:15], s[20:21]
	v_add_f64 v[80:81], v[80:81], v[88:89]
	v_fma_f64 v[88:89], s[22:23], v[38:39], v[86:87]
	v_fma_f64 v[86:87], v[38:39], s[22:23], -v[86:87]
	v_add_f64 v[24:25], v[24:25], v[32:33]
	v_fma_f64 v[32:33], v[28:29], s[14:15], -v[26:27]
	v_mul_f64 v[38:39], v[12:13], s[20:21]
	v_fmac_f64_e32 v[26:27], s[14:15], v[28:29]
	v_add_f64 v[36:37], v[36:37], v[40:41]
	v_fma_f64 v[40:41], s[14:15], v[30:31], v[38:39]
	v_add_f64 v[26:27], v[26:27], v[34:35]
	v_fma_f64 v[34:35], v[30:31], s[14:15], -v[38:39]
	v_mul_f64 v[38:39], v[14:15], s[0:1]
	v_add_f64 v[32:33], v[32:33], v[42:43]
	v_fma_f64 v[42:43], v[28:29], s[90:91], -v[38:39]
	v_fmac_f64_e32 v[38:39], s[90:91], v[28:29]
	v_add_f64 v[38:39], v[38:39], v[46:47]
	v_mul_f64 v[46:47], v[14:15], s[92:93]
	v_add_f64 v[42:43], v[42:43], v[50:51]
	v_fma_f64 v[50:51], v[28:29], s[8:9], -v[46:47]
	v_fmac_f64_e32 v[46:47], s[8:9], v[28:29]
	v_add_f64 v[34:35], v[34:35], v[44:45]
	v_mul_f64 v[44:45], v[12:13], s[0:1]
	v_add_f64 v[46:47], v[46:47], v[56:57]
	v_mul_f64 v[56:57], v[14:15], s[18:19]
	v_add_f64 v[40:41], v[40:41], v[48:49]
	v_fma_f64 v[48:49], s[90:91], v[30:31], v[44:45]
	v_fma_f64 v[44:45], v[30:31], s[90:91], -v[44:45]
	v_add_f64 v[50:51], v[50:51], v[58:59]
	v_fma_f64 v[58:59], v[28:29], s[2:3], -v[56:57]
	v_fmac_f64_e32 v[56:57], s[2:3], v[28:29]
	v_add_f64 v[120:121], v[120:121], v[140:141]
	v_add_f64 v[122:123], v[122:123], v[142:143]
	;; [unrolled: 1-line block ×3, first 2 shown]
	v_mul_f64 v[52:53], v[12:13], s[92:93]
	v_add_f64 v[56:57], v[56:57], v[64:65]
	v_mul_f64 v[64:65], v[14:15], s[28:29]
	v_add_f64 v[118:119], v[118:119], v[138:139]
	v_add_f64 v[112:113], v[112:113], v[120:121]
	;; [unrolled: 1-line block ×4, first 2 shown]
	v_fma_f64 v[54:55], s[8:9], v[30:31], v[52:53]
	v_fma_f64 v[52:53], v[30:31], s[8:9], -v[52:53]
	v_add_f64 v[58:59], v[58:59], v[66:67]
	v_fma_f64 v[66:67], v[28:29], s[22:23], -v[64:65]
	v_fmac_f64_e32 v[64:65], s[22:23], v[28:29]
	v_add_f64 v[110:111], v[110:111], v[118:119]
	v_add_f64 v[104:105], v[104:105], v[112:113]
	;; [unrolled: 1-line block ×4, first 2 shown]
	v_mul_f64 v[60:61], v[12:13], s[18:19]
	v_add_f64 v[64:65], v[64:65], v[72:73]
	v_mul_f64 v[72:73], v[14:15], s[10:11]
	v_add_f64 v[124:125], v[124:125], v[144:145]
	v_add_f64 v[102:103], v[102:103], v[110:111]
	;; [unrolled: 1-line block ×5, first 2 shown]
	v_fma_f64 v[62:63], s[2:3], v[30:31], v[60:61]
	v_fma_f64 v[60:61], v[30:31], s[2:3], -v[60:61]
	v_add_f64 v[66:67], v[66:67], v[76:77]
	v_fma_f64 v[76:77], v[28:29], s[12:13], -v[72:73]
	v_fmac_f64_e32 v[72:73], s[12:13], v[28:29]
	v_mul_f64 v[14:15], v[14:15], s[84:85]
	v_add_f64 v[116:117], v[116:117], v[124:125]
	v_add_f64 v[94:95], v[94:95], v[102:103]
	;; [unrolled: 1-line block ×5, first 2 shown]
	v_mul_f64 v[70:71], v[12:13], s[28:29]
	v_add_f64 v[72:73], v[72:73], v[82:83]
	v_fma_f64 v[82:83], v[28:29], vcc, -v[14:15]
	v_add_f64 v[96:97], v[6:7], -v[10:11]
	v_add_f64 v[108:109], v[108:109], v[116:117]
	v_add_f64 v[86:87], v[86:87], v[94:95]
	;; [unrolled: 1-line block ×3, first 2 shown]
	v_fma_f64 v[74:75], s[22:23], v[30:31], v[70:71]
	v_fma_f64 v[70:71], v[30:31], s[22:23], -v[70:71]
	v_add_f64 v[82:83], v[82:83], v[90:91]
	v_add_f64 v[90:91], v[4:5], v[8:9]
	v_add_f64 v[94:95], v[4:5], -v[8:9]
	v_mul_f64 v[8:9], v[96:97], s[28:29]
	v_add_f64 v[100:101], v[100:101], v[108:109]
	v_add_f64 v[70:71], v[70:71], v[78:79]
	v_mul_f64 v[78:79], v[12:13], s[10:11]
	v_mul_f64 v[12:13], v[12:13], s[84:85]
	v_fma_f64 v[4:5], v[90:91], s[22:23], -v[8:9]
	v_fmac_f64_e32 v[8:9], s[22:23], v[90:91]
	v_add_f64 v[92:93], v[92:93], v[100:101]
	v_add_f64 v[74:75], v[74:75], v[80:81]
	;; [unrolled: 1-line block ×3, first 2 shown]
	v_fma_f64 v[80:81], s[12:13], v[30:31], v[78:79]
	v_fma_f64 v[84:85], vcc, v[30:31], v[12:13]
	v_fma_f64 v[12:13], v[30:31], vcc, -v[12:13]
	v_add_f64 v[8:9], v[8:9], v[16:17]
	v_mul_f64 v[16:17], v[96:97], s[16:17]
	v_add_f64 v[80:81], v[80:81], v[88:89]
	v_add_f64 v[84:85], v[84:85], v[92:93]
	;; [unrolled: 1-line block ×4, first 2 shown]
	v_mul_f64 v[10:11], v[94:95], s[28:29]
	v_fma_f64 v[12:13], v[90:91], s[2:3], -v[16:17]
	v_fmac_f64_e32 v[16:17], s[2:3], v[90:91]
	v_fma_f64 v[78:79], v[30:31], s[12:13], -v[78:79]
	v_fmac_f64_e32 v[14:15], vcc, v[28:29]
	v_add_f64 v[4:5], v[4:5], v[18:19]
	v_fma_f64 v[6:7], s[22:23], v[92:93], v[10:11]
	v_fma_f64 v[10:11], v[92:93], s[22:23], -v[10:11]
	v_mul_f64 v[18:19], v[94:95], s[16:17]
	v_add_f64 v[16:17], v[16:17], v[26:27]
	v_mul_f64 v[26:27], v[94:95], s[94:95]
	v_add_f64 v[78:79], v[78:79], v[86:87]
	v_add_f64 v[86:87], v[14:15], v[22:23]
	;; [unrolled: 1-line block ×3, first 2 shown]
	v_fma_f64 v[14:15], s[2:3], v[92:93], v[18:19]
	v_mul_f64 v[24:25], v[96:97], s[94:95]
	v_fma_f64 v[22:23], s[6:7], v[92:93], v[26:27]
	v_add_f64 v[12:13], v[12:13], v[32:33]
	v_add_f64 v[14:15], v[14:15], v[40:41]
	v_fma_f64 v[18:19], v[92:93], s[2:3], -v[18:19]
	v_fma_f64 v[20:21], v[90:91], s[6:7], -v[24:25]
	v_add_f64 v[22:23], v[22:23], v[48:49]
	v_fma_f64 v[26:27], v[92:93], s[6:7], -v[26:27]
	v_mul_f64 v[32:33], v[96:97], s[10:11]
	v_mul_f64 v[40:41], v[96:97], s[86:87]
	;; [unrolled: 1-line block ×3, first 2 shown]
	v_add_f64 v[6:7], v[6:7], v[36:37]
	v_add_f64 v[18:19], v[18:19], v[34:35]
	;; [unrolled: 1-line block ×3, first 2 shown]
	v_fmac_f64_e32 v[24:25], s[6:7], v[90:91]
	v_add_f64 v[26:27], v[26:27], v[44:45]
	v_fma_f64 v[28:29], v[90:91], s[12:13], -v[32:33]
	v_mul_f64 v[34:35], v[94:95], s[10:11]
	v_fma_f64 v[36:37], v[90:91], s[8:9], -v[40:41]
	v_mul_f64 v[42:43], v[94:95], s[86:87]
	v_fmac_f64_e32 v[40:41], s[8:9], v[90:91]
	v_fma_f64 v[44:45], v[90:91], s[14:15], -v[48:49]
	v_fmac_f64_e32 v[48:49], s[14:15], v[90:91]
	v_add_f64 v[24:25], v[24:25], v[38:39]
	v_add_f64 v[28:29], v[28:29], v[50:51]
	v_fma_f64 v[30:31], s[12:13], v[92:93], v[34:35]
	v_fmac_f64_e32 v[32:33], s[12:13], v[90:91]
	v_fma_f64 v[34:35], v[92:93], s[12:13], -v[34:35]
	v_add_f64 v[36:37], v[36:37], v[58:59]
	v_fma_f64 v[38:39], s[8:9], v[92:93], v[42:43]
	v_add_f64 v[40:41], v[40:41], v[56:57]
	v_fma_f64 v[42:43], v[92:93], s[8:9], -v[42:43]
	v_add_f64 v[44:45], v[44:45], v[66:67]
	v_mul_f64 v[50:51], v[94:95], s[20:21]
	v_add_f64 v[48:49], v[48:49], v[64:65]
	v_mul_f64 v[56:57], v[96:97], s[84:85]
	v_mul_f64 v[58:59], v[94:95], s[84:85]
	;; [unrolled: 1-line block ×4, first 2 shown]
	v_add_f64 v[30:31], v[30:31], v[54:55]
	v_add_f64 v[32:33], v[32:33], v[46:47]
	;; [unrolled: 1-line block ×5, first 2 shown]
	v_fma_f64 v[46:47], s[14:15], v[92:93], v[50:51]
	v_fma_f64 v[50:51], v[92:93], s[14:15], -v[50:51]
	v_fma_f64 v[52:53], v[90:91], vcc, -v[56:57]
	v_fma_f64 v[54:55], vcc, v[92:93], v[58:59]
	v_fmac_f64_e32 v[56:57], vcc, v[90:91]
	v_fma_f64 v[58:59], v[92:93], vcc, -v[58:59]
	v_fma_f64 v[60:61], v[90:91], s[90:91], -v[64:65]
	v_fma_f64 v[62:63], s[90:91], v[92:93], v[66:67]
	v_fmac_f64_e32 v[64:65], s[90:91], v[90:91]
	v_fma_f64 v[66:67], v[92:93], s[90:91], -v[66:67]
	v_add_f64 v[46:47], v[46:47], v[74:75]
	v_add_f64 v[50:51], v[50:51], v[70:71]
	;; [unrolled: 1-line block ×10, first 2 shown]
	ds_write_b128 v126, v[0:3]
	ds_write_b128 v126, v[4:7] offset:16
	ds_write_b128 v126, v[12:15] offset:32
	;; [unrolled: 1-line block ×16, first 2 shown]
	s_waitcnt lgkmcnt(0)
	s_barrier
	ds_read_b128 v[0:3], v126
	ds_read_b128 v[4:7], v126 offset:16
	ds_read_b128 v[8:11], v126 offset:32
	;; [unrolled: 1-line block ×3, first 2 shown]
	s_mov_b32 s0, 0x5d8e7cdc
	s_waitcnt lgkmcnt(3)
	v_mul_f64 v[16:17], v[2:3], s[74:75]
	v_mul_f64 v[18:19], v[0:1], s[74:75]
	v_fma_f64 v[16:17], v[0:1], s[72:73], -v[16:17]
	v_fmac_f64_e32 v[18:19], s[72:73], v[2:3]
	s_waitcnt lgkmcnt(2)
	v_mul_f64 v[0:1], v[6:7], s[78:79]
	v_mul_f64 v[2:3], v[4:5], s[78:79]
	v_fma_f64 v[0:1], v[4:5], s[76:77], -v[0:1]
	v_fmac_f64_e32 v[2:3], s[76:77], v[6:7]
	ds_write_b128 v126, v[0:3] offset:16
	s_waitcnt lgkmcnt(2)
	v_mul_f64 v[0:1], v[10:11], s[82:83]
	v_mul_f64 v[2:3], v[8:9], s[82:83]
	v_fma_f64 v[0:1], v[8:9], s[80:81], -v[0:1]
	v_fmac_f64_e32 v[2:3], s[80:81], v[10:11]
	s_load_dwordx16 s[72:87], s[26:27], 0x140
	ds_write_b128 v126, v[0:3] offset:32
	ds_write_b128 v126, v[16:19]
	s_mov_b32 s1, 0xbfd71e95
	s_waitcnt lgkmcnt(0)
	v_mul_f64 v[0:1], v[14:15], s[74:75]
	v_mul_f64 v[2:3], v[12:13], s[74:75]
	v_fma_f64 v[0:1], v[12:13], s[72:73], -v[0:1]
	v_fmac_f64_e32 v[2:3], s[72:73], v[14:15]
	ds_write_b128 v126, v[0:3] offset:48
	ds_read_b128 v[0:3], v126 offset:64
	s_waitcnt lgkmcnt(0)
	v_mul_f64 v[4:5], v[2:3], s[78:79]
	v_mul_f64 v[6:7], v[0:1], s[78:79]
	v_fma_f64 v[4:5], v[0:1], s[76:77], -v[4:5]
	v_fmac_f64_e32 v[6:7], s[76:77], v[2:3]
	ds_read_b128 v[0:3], v126 offset:80
	ds_write_b128 v126, v[4:7] offset:64
	s_waitcnt lgkmcnt(1)
	v_mul_f64 v[4:5], v[2:3], s[82:83]
	v_mul_f64 v[6:7], v[0:1], s[82:83]
	v_fma_f64 v[4:5], v[0:1], s[80:81], -v[4:5]
	v_fmac_f64_e32 v[6:7], s[80:81], v[2:3]
	ds_read_b128 v[0:3], v126 offset:96
	ds_write_b128 v126, v[4:7] offset:80
	s_waitcnt lgkmcnt(1)
	v_mul_f64 v[4:5], v[2:3], s[86:87]
	v_mul_f64 v[6:7], v[0:1], s[86:87]
	v_fma_f64 v[4:5], v[0:1], s[84:85], -v[4:5]
	v_fmac_f64_e32 v[6:7], s[84:85], v[2:3]
	ds_read_b128 v[0:3], v126 offset:112
	s_load_dwordx16 s[72:87], s[26:27], 0x180
	ds_write_b128 v126, v[4:7] offset:96
	s_waitcnt lgkmcnt(0)
	v_mul_f64 v[4:5], v[2:3], s[74:75]
	v_mul_f64 v[6:7], v[0:1], s[74:75]
	v_fma_f64 v[4:5], v[0:1], s[72:73], -v[4:5]
	v_fmac_f64_e32 v[6:7], s[72:73], v[2:3]
	ds_read_b128 v[0:3], v126 offset:128
	ds_write_b128 v126, v[4:7] offset:112
	s_waitcnt lgkmcnt(1)
	v_mul_f64 v[4:5], v[2:3], s[78:79]
	v_mul_f64 v[6:7], v[0:1], s[78:79]
	v_fma_f64 v[4:5], v[0:1], s[76:77], -v[4:5]
	v_fmac_f64_e32 v[6:7], s[76:77], v[2:3]
	ds_read_b128 v[0:3], v126 offset:144
	;; [unrolled: 7-line block ×4, first 2 shown]
	s_load_dwordx16 s[72:87], s[26:27], 0x1c0
	ds_write_b128 v126, v[4:7] offset:160
	s_waitcnt lgkmcnt(0)
	v_mul_f64 v[4:5], v[2:3], s[74:75]
	v_mul_f64 v[6:7], v[0:1], s[74:75]
	v_fma_f64 v[4:5], v[0:1], s[72:73], -v[4:5]
	v_fmac_f64_e32 v[6:7], s[72:73], v[2:3]
	ds_read_b128 v[0:3], v126 offset:192
	ds_write_b128 v126, v[4:7] offset:176
	s_waitcnt lgkmcnt(1)
	v_mul_f64 v[4:5], v[2:3], s[78:79]
	v_mul_f64 v[6:7], v[0:1], s[78:79]
	v_fma_f64 v[4:5], v[0:1], s[76:77], -v[4:5]
	v_fmac_f64_e32 v[6:7], s[76:77], v[2:3]
	ds_read_b128 v[0:3], v126 offset:208
	ds_write_b128 v126, v[4:7] offset:192
	s_load_dwordx8 s[72:79], s[26:27], 0x200
	s_mov_b32 s26, 0x7c9e640b
	s_mov_b32 s27, 0xbfeca52d
	s_waitcnt lgkmcnt(0)
	v_mul_f64 v[4:5], v[2:3], s[82:83]
	v_mul_f64 v[6:7], v[0:1], s[82:83]
	v_fma_f64 v[4:5], v[0:1], s[80:81], -v[4:5]
	v_fmac_f64_e32 v[6:7], s[80:81], v[2:3]
	ds_read_b128 v[0:3], v126 offset:224
	ds_write_b128 v126, v[4:7] offset:208
	s_waitcnt lgkmcnt(1)
	v_mul_f64 v[4:5], v[2:3], s[86:87]
	v_mul_f64 v[6:7], v[0:1], s[86:87]
	v_fma_f64 v[4:5], v[0:1], s[84:85], -v[4:5]
	v_fmac_f64_e32 v[6:7], s[84:85], v[2:3]
	ds_read_b128 v[0:3], v126 offset:240
	ds_write_b128 v126, v[4:7] offset:224
	;; [unrolled: 7-line block ×3, first 2 shown]
	s_mov_b32 s74, 0x6c9a05f6
	s_mov_b32 s75, 0xbfe9895b
	;; [unrolled: 1-line block ×3, first 2 shown]
	s_waitcnt lgkmcnt(1)
	v_mul_f64 v[4:5], v[2:3], s[78:79]
	v_mul_f64 v[6:7], v[0:1], s[78:79]
	v_fma_f64 v[4:5], v[0:1], s[76:77], -v[4:5]
	v_fmac_f64_e32 v[6:7], s[76:77], v[2:3]
	ds_write_b128 v126, v[4:7] offset:256
	s_waitcnt lgkmcnt(0)
	s_barrier
	ds_read_b128 v[56:59], v126
	ds_read_b128 v[64:67], v126 offset:16
	ds_read_b128 v[52:55], v126 offset:32
	;; [unrolled: 1-line block ×16, first 2 shown]
	s_waitcnt lgkmcnt(14)
	v_add_f64 v[0:1], v[56:57], v[64:65]
	v_add_f64 v[0:1], v[0:1], v[52:53]
	s_waitcnt lgkmcnt(13)
	v_add_f64 v[0:1], v[0:1], v[44:45]
	s_waitcnt lgkmcnt(12)
	;; [unrolled: 2-line block ×7, first 2 shown]
	v_add_f64 v[0:1], v[0:1], v[8:9]
	v_add_f64 v[2:3], v[58:59], v[66:67]
	s_waitcnt lgkmcnt(6)
	v_add_f64 v[0:1], v[0:1], v[16:17]
	v_add_f64 v[2:3], v[2:3], v[54:55]
	s_waitcnt lgkmcnt(5)
	;; [unrolled: 3-line block ×3, first 2 shown]
	v_add_f64 v[0:1], v[0:1], v[32:33]
	s_waitcnt lgkmcnt(0)
	v_add_f64 v[98:99], v[66:67], -v[74:75]
	v_add_f64 v[2:3], v[2:3], v[38:39]
	v_add_f64 v[0:1], v[0:1], v[40:41]
	;; [unrolled: 1-line block ×3, first 2 shown]
	v_add_f64 v[140:141], v[64:65], -v[72:73]
	v_mul_f64 v[64:65], v[98:99], s[0:1]
	v_add_f64 v[2:3], v[2:3], v[30:31]
	v_add_f64 v[0:1], v[0:1], v[48:49]
	v_add_f64 v[138:139], v[66:67], v[74:75]
	v_fma_f64 v[66:67], s[2:3], v[70:71], v[64:65]
	v_add_f64 v[2:3], v[2:3], v[22:23]
	v_add_f64 v[0:1], v[0:1], v[60:61]
	;; [unrolled: 1-line block ×3, first 2 shown]
	v_mul_f64 v[66:67], v[138:139], s[2:3]
	v_fma_f64 v[64:65], v[70:71], s[2:3], -v[64:65]
	v_add_f64 v[2:3], v[2:3], v[14:15]
	v_add_f64 v[0:1], v[0:1], v[72:73]
	v_fma_f64 v[72:73], s[16:17], v[140:141], v[66:67]
	v_add_f64 v[104:105], v[56:57], v[64:65]
	v_fmac_f64_e32 v[66:67], s[0:1], v[140:141]
	v_mul_f64 v[64:65], v[98:99], s[4:5]
	v_add_f64 v[2:3], v[2:3], v[6:7]
	v_add_f64 v[106:107], v[58:59], v[66:67]
	v_fma_f64 v[66:67], s[12:13], v[70:71], v[64:65]
	v_add_f64 v[2:3], v[2:3], v[10:11]
	v_add_f64 v[108:109], v[56:57], v[66:67]
	v_mul_f64 v[66:67], v[138:139], s[12:13]
	v_fma_f64 v[64:65], v[70:71], s[12:13], -v[64:65]
	v_add_f64 v[2:3], v[2:3], v[18:19]
	v_add_f64 v[102:103], v[58:59], v[72:73]
	v_fma_f64 v[72:73], s[10:11], v[140:141], v[66:67]
	v_add_f64 v[112:113], v[56:57], v[64:65]
	v_fmac_f64_e32 v[66:67], s[4:5], v[140:141]
	v_mul_f64 v[64:65], v[98:99], s[26:27]
	v_add_f64 v[2:3], v[2:3], v[26:27]
	v_add_f64 v[114:115], v[58:59], v[66:67]
	v_fma_f64 v[66:67], s[14:15], v[70:71], v[64:65]
	v_add_f64 v[2:3], v[2:3], v[34:35]
	v_add_f64 v[116:117], v[56:57], v[66:67]
	v_mul_f64 v[66:67], v[138:139], s[14:15]
	v_add_f64 v[2:3], v[2:3], v[42:43]
	v_add_f64 v[110:111], v[58:59], v[72:73]
	v_fma_f64 v[72:73], s[20:21], v[140:141], v[66:67]
	v_fmac_f64_e32 v[66:67], s[26:27], v[140:141]
	s_mov_b32 s0, 0xeb564b22
	s_mov_b32 s26, 0x923c349f
	;; [unrolled: 1-line block ×3, first 2 shown]
	v_add_f64 v[2:3], v[2:3], v[50:51]
	s_mov_b32 s1, 0xbfefdd0d
	s_mov_b32 s27, 0xbfeec746
	;; [unrolled: 1-line block ×3, first 2 shown]
	v_add_f64 v[2:3], v[2:3], v[62:63]
	v_fma_f64 v[64:65], v[70:71], s[14:15], -v[64:65]
	v_add_f64 v[122:123], v[58:59], v[66:67]
	v_mul_f64 v[66:67], v[98:99], s[0:1]
	v_mul_f64 v[78:79], v[98:99], s[26:27]
	;; [unrolled: 1-line block ×5, first 2 shown]
	v_add_f64 v[2:3], v[2:3], v[74:75]
	v_add_f64 v[118:119], v[58:59], v[72:73]
	;; [unrolled: 1-line block ×3, first 2 shown]
	v_fma_f64 v[64:65], s[90:91], v[70:71], v[66:67]
	v_mul_f64 v[72:73], v[138:139], s[90:91]
	v_fma_f64 v[66:67], v[70:71], s[90:91], -v[66:67]
	v_fma_f64 v[74:75], vcc, v[70:71], v[78:79]
	v_mul_f64 v[80:81], v[138:139], vcc
	v_fma_f64 v[78:79], v[70:71], vcc, -v[78:79]
	v_fma_f64 v[82:83], s[8:9], v[70:71], v[86:87]
	v_mul_f64 v[88:89], v[138:139], s[8:9]
	v_fma_f64 v[86:87], v[70:71], s[8:9], -v[86:87]
	v_fma_f64 v[90:91], s[6:7], v[70:71], v[94:95]
	v_mul_f64 v[96:97], v[138:139], s[6:7]
	v_fma_f64 v[94:95], v[70:71], s[6:7], -v[94:95]
	;; [unrolled: 3-line block ×3, first 2 shown]
	v_add_f64 v[142:143], v[54:55], v[62:63]
	v_add_f64 v[62:63], v[54:55], -v[62:63]
	v_add_f64 v[124:125], v[56:57], v[64:65]
	v_fma_f64 v[64:65], s[34:35], v[140:141], v[72:73]
	v_fmac_f64_e32 v[72:73], s[0:1], v[140:141]
	v_fma_f64 v[76:77], s[24:25], v[140:141], v[80:81]
	v_fmac_f64_e32 v[80:81], s[26:27], v[140:141]
	;; [unrolled: 2-line block ×5, first 2 shown]
	v_add_f64 v[140:141], v[52:53], v[60:61]
	v_add_f64 v[146:147], v[52:53], -v[60:61]
	v_mul_f64 v[52:53], v[62:63], s[4:5]
	v_fma_f64 v[54:55], s[12:13], v[140:141], v[52:53]
	v_add_f64 v[100:101], v[54:55], v[100:101]
	v_mul_f64 v[54:55], v[142:143], s[12:13]
	v_fma_f64 v[52:53], v[140:141], s[12:13], -v[52:53]
	v_add_f64 v[66:67], v[56:57], v[66:67]
	v_add_f64 v[74:75], v[56:57], v[74:75]
	;; [unrolled: 1-line block ×9, first 2 shown]
	v_fma_f64 v[56:57], s[10:11], v[146:147], v[54:55]
	v_add_f64 v[104:105], v[52:53], v[104:105]
	v_fmac_f64_e32 v[54:55], s[4:5], v[146:147]
	v_mul_f64 v[52:53], v[62:63], s[0:1]
	v_add_f64 v[106:107], v[54:55], v[106:107]
	v_fma_f64 v[54:55], s[90:91], v[140:141], v[52:53]
	v_add_f64 v[108:109], v[54:55], v[108:109]
	v_mul_f64 v[54:55], v[142:143], s[90:91]
	v_fma_f64 v[52:53], v[140:141], s[90:91], -v[52:53]
	v_add_f64 v[102:103], v[56:57], v[102:103]
	v_fma_f64 v[56:57], s[34:35], v[146:147], v[54:55]
	v_add_f64 v[112:113], v[52:53], v[112:113]
	v_fmac_f64_e32 v[54:55], s[0:1], v[146:147]
	v_mul_f64 v[52:53], v[62:63], s[74:75]
	v_add_f64 v[114:115], v[54:55], v[114:115]
	v_fma_f64 v[54:55], s[8:9], v[140:141], v[52:53]
	v_add_f64 v[60:61], v[54:55], v[116:117]
	v_mul_f64 v[54:55], v[142:143], s[8:9]
	v_add_f64 v[110:111], v[56:57], v[110:111]
	v_fma_f64 v[56:57], s[92:93], v[146:147], v[54:55]
	v_fma_f64 v[52:53], v[140:141], s[8:9], -v[52:53]
	v_fmac_f64_e32 v[54:55], s[74:75], v[146:147]
	v_mul_f64 v[116:117], v[62:63], s[28:29]
	v_add_f64 v[64:65], v[58:59], v[64:65]
	v_add_f64 v[72:73], v[58:59], v[72:73]
	;; [unrolled: 1-line block ×13, first 2 shown]
	v_fma_f64 v[54:55], s[22:23], v[140:141], v[116:117]
	v_mul_f64 v[118:119], v[142:143], s[22:23]
	v_fma_f64 v[116:117], v[140:141], s[22:23], -v[116:117]
	v_fma_f64 v[120:121], s[88:89], v[146:147], v[118:119]
	v_add_f64 v[66:67], v[116:117], v[66:67]
	v_fmac_f64_e32 v[118:119], s[28:29], v[146:147]
	v_mul_f64 v[116:117], v[62:63], s[30:31]
	v_add_f64 v[72:73], v[118:119], v[72:73]
	v_fma_f64 v[118:119], s[6:7], v[140:141], v[116:117]
	v_add_f64 v[74:75], v[118:119], v[74:75]
	v_mul_f64 v[118:119], v[142:143], s[6:7]
	v_fma_f64 v[116:117], v[140:141], s[6:7], -v[116:117]
	v_add_f64 v[64:65], v[120:121], v[64:65]
	v_fma_f64 v[120:121], s[76:77], v[146:147], v[118:119]
	v_add_f64 v[78:79], v[116:117], v[78:79]
	v_fmac_f64_e32 v[118:119], s[30:31], v[146:147]
	v_mul_f64 v[116:117], v[62:63], s[24:25]
	v_add_f64 v[80:81], v[118:119], v[80:81]
	v_fma_f64 v[118:119], vcc, v[140:141], v[116:117]
	v_add_f64 v[82:83], v[118:119], v[82:83]
	v_mul_f64 v[118:119], v[142:143], vcc
	v_fma_f64 v[116:117], v[140:141], vcc, -v[116:117]
	v_add_f64 v[76:77], v[120:121], v[76:77]
	v_fma_f64 v[120:121], s[26:27], v[146:147], v[118:119]
	v_add_f64 v[86:87], v[116:117], v[86:87]
	v_fmac_f64_e32 v[118:119], s[24:25], v[146:147]
	v_mul_f64 v[116:117], v[62:63], s[20:21]
	v_add_f64 v[88:89], v[118:119], v[88:89]
	v_fma_f64 v[118:119], s[14:15], v[140:141], v[116:117]
	v_fma_f64 v[116:117], v[140:141], s[14:15], -v[116:117]
	v_mul_f64 v[62:63], v[62:63], s[16:17]
	s_mov_b32 s73, 0xbfeca52d
	v_add_f64 v[90:91], v[118:119], v[90:91]
	v_mul_f64 v[118:119], v[142:143], s[14:15]
	v_add_f64 v[94:95], v[116:117], v[94:95]
	v_fma_f64 v[116:117], s[2:3], v[140:141], v[62:63]
	v_add_f64 v[84:85], v[120:121], v[84:85]
	v_fma_f64 v[120:121], s[72:73], v[146:147], v[118:119]
	v_fmac_f64_e32 v[118:119], s[20:21], v[146:147]
	v_add_f64 v[98:99], v[116:117], v[98:99]
	v_mul_f64 v[116:117], v[142:143], s[2:3]
	v_add_f64 v[92:93], v[120:121], v[92:93]
	v_add_f64 v[96:97], v[118:119], v[96:97]
	v_fma_f64 v[118:119], s[18:19], v[146:147], v[116:117]
	v_fma_f64 v[62:63], v[140:141], s[2:3], -v[62:63]
	v_fmac_f64_e32 v[116:117], s[16:17], v[146:147]
	v_add_f64 v[120:121], v[46:47], v[50:51]
	v_add_f64 v[50:51], v[46:47], -v[50:51]
	v_add_f64 v[62:63], v[62:63], v[70:71]
	v_add_f64 v[70:71], v[116:117], v[138:139]
	;; [unrolled: 1-line block ×3, first 2 shown]
	v_add_f64 v[122:123], v[44:45], -v[48:49]
	v_mul_f64 v[44:45], v[50:51], s[72:73]
	v_fma_f64 v[46:47], s[14:15], v[116:117], v[44:45]
	v_add_f64 v[100:101], v[46:47], v[100:101]
	v_mul_f64 v[46:47], v[120:121], s[14:15]
	v_fma_f64 v[48:49], s[20:21], v[122:123], v[46:47]
	v_fmac_f64_e32 v[46:47], s[72:73], v[122:123]
	v_fma_f64 v[44:45], v[116:117], s[14:15], -v[44:45]
	v_add_f64 v[106:107], v[46:47], v[106:107]
	v_mul_f64 v[46:47], v[50:51], s[74:75]
	v_add_f64 v[102:103], v[48:49], v[102:103]
	v_add_f64 v[104:105], v[44:45], v[104:105]
	v_fma_f64 v[44:45], s[8:9], v[116:117], v[46:47]
	v_mul_f64 v[48:49], v[120:121], s[8:9]
	v_add_f64 v[108:109], v[44:45], v[108:109]
	v_fma_f64 v[44:45], s[92:93], v[122:123], v[48:49]
	v_add_f64 v[44:45], v[44:45], v[110:111]
	v_fma_f64 v[46:47], v[116:117], s[8:9], -v[46:47]
	v_mul_f64 v[110:111], v[50:51], s[88:89]
	v_add_f64 v[46:47], v[46:47], v[112:113]
	v_fma_f64 v[112:113], s[22:23], v[116:117], v[110:111]
	v_fmac_f64_e32 v[48:49], s[74:75], v[122:123]
	v_add_f64 v[60:61], v[112:113], v[60:61]
	v_mul_f64 v[112:113], v[120:121], s[22:23]
	v_fma_f64 v[110:111], v[116:117], s[22:23], -v[110:111]
	v_add_f64 v[48:49], v[48:49], v[114:115]
	v_fma_f64 v[114:115], s[28:29], v[122:123], v[112:113]
	v_add_f64 v[58:59], v[110:111], v[58:59]
	v_fmac_f64_e32 v[112:113], s[88:89], v[122:123]
	v_mul_f64 v[110:111], v[50:51], s[24:25]
	v_add_f64 v[54:55], v[54:55], v[124:125]
	v_add_f64 v[52:53], v[112:113], v[52:53]
	v_fma_f64 v[112:113], vcc, v[116:117], v[110:111]
	v_add_f64 v[54:55], v[112:113], v[54:55]
	v_mul_f64 v[112:113], v[120:121], vcc
	v_fma_f64 v[110:111], v[116:117], vcc, -v[110:111]
	v_add_f64 v[56:57], v[114:115], v[56:57]
	v_fma_f64 v[114:115], s[26:27], v[122:123], v[112:113]
	v_add_f64 v[66:67], v[110:111], v[66:67]
	v_fmac_f64_e32 v[112:113], s[24:25], v[122:123]
	v_mul_f64 v[110:111], v[50:51], s[10:11]
	v_add_f64 v[72:73], v[112:113], v[72:73]
	v_fma_f64 v[112:113], s[12:13], v[116:117], v[110:111]
	v_add_f64 v[74:75], v[112:113], v[74:75]
	v_mul_f64 v[112:113], v[120:121], s[12:13]
	v_fma_f64 v[110:111], v[116:117], s[12:13], -v[110:111]
	v_add_f64 v[64:65], v[114:115], v[64:65]
	v_fma_f64 v[114:115], s[4:5], v[122:123], v[112:113]
	v_add_f64 v[78:79], v[110:111], v[78:79]
	v_fmac_f64_e32 v[112:113], s[10:11], v[122:123]
	v_mul_f64 v[110:111], v[50:51], s[18:19]
	v_add_f64 v[80:81], v[112:113], v[80:81]
	v_fma_f64 v[112:113], s[2:3], v[116:117], v[110:111]
	v_add_f64 v[82:83], v[112:113], v[82:83]
	v_mul_f64 v[112:113], v[120:121], s[2:3]
	v_fma_f64 v[110:111], v[116:117], s[2:3], -v[110:111]
	v_add_f64 v[76:77], v[114:115], v[76:77]
	v_fma_f64 v[114:115], s[16:17], v[122:123], v[112:113]
	v_add_f64 v[86:87], v[110:111], v[86:87]
	v_fmac_f64_e32 v[112:113], s[18:19], v[122:123]
	v_mul_f64 v[110:111], v[50:51], s[0:1]
	v_add_f64 v[88:89], v[112:113], v[88:89]
	v_fma_f64 v[112:113], s[90:91], v[116:117], v[110:111]
	v_fma_f64 v[110:111], v[116:117], s[90:91], -v[110:111]
	v_mul_f64 v[50:51], v[50:51], s[76:77]
	v_add_f64 v[90:91], v[112:113], v[90:91]
	v_mul_f64 v[112:113], v[120:121], s[90:91]
	v_add_f64 v[94:95], v[110:111], v[94:95]
	v_fma_f64 v[110:111], s[6:7], v[116:117], v[50:51]
	v_add_f64 v[84:85], v[114:115], v[84:85]
	v_fma_f64 v[114:115], s[34:35], v[122:123], v[112:113]
	v_fmac_f64_e32 v[112:113], s[0:1], v[122:123]
	v_add_f64 v[98:99], v[110:111], v[98:99]
	v_mul_f64 v[110:111], v[120:121], s[6:7]
	v_add_f64 v[118:119], v[118:119], v[144:145]
	v_add_f64 v[96:97], v[112:113], v[96:97]
	v_fma_f64 v[112:113], s[30:31], v[122:123], v[110:111]
	v_add_f64 v[112:113], v[112:113], v[118:119]
	v_fmac_f64_e32 v[110:111], s[76:77], v[122:123]
	v_add_f64 v[118:119], v[38:39], -v[42:43]
	v_fma_f64 v[50:51], v[116:117], s[6:7], -v[50:51]
	v_add_f64 v[70:71], v[110:111], v[70:71]
	v_add_f64 v[110:111], v[36:37], v[40:41]
	v_add_f64 v[116:117], v[36:37], -v[40:41]
	v_mul_f64 v[36:37], v[118:119], s[0:1]
	v_add_f64 v[92:93], v[114:115], v[92:93]
	v_add_f64 v[114:115], v[38:39], v[42:43]
	v_fma_f64 v[38:39], s[90:91], v[110:111], v[36:37]
	v_add_f64 v[100:101], v[38:39], v[100:101]
	v_mul_f64 v[38:39], v[114:115], s[90:91]
	v_fma_f64 v[36:37], v[110:111], s[90:91], -v[36:37]
	v_fma_f64 v[40:41], s[34:35], v[116:117], v[38:39]
	v_add_f64 v[104:105], v[36:37], v[104:105]
	v_fmac_f64_e32 v[38:39], s[0:1], v[116:117]
	v_mul_f64 v[36:37], v[118:119], s[28:29]
	v_add_f64 v[106:107], v[38:39], v[106:107]
	v_fma_f64 v[38:39], s[22:23], v[110:111], v[36:37]
	v_add_f64 v[108:109], v[38:39], v[108:109]
	v_mul_f64 v[38:39], v[114:115], s[22:23]
	v_fma_f64 v[36:37], v[110:111], s[22:23], -v[36:37]
	v_add_f64 v[102:103], v[40:41], v[102:103]
	v_fma_f64 v[40:41], s[88:89], v[116:117], v[38:39]
	v_add_f64 v[122:123], v[36:37], v[46:47]
	v_fmac_f64_e32 v[38:39], s[28:29], v[116:117]
	v_mul_f64 v[36:37], v[118:119], s[24:25]
	v_add_f64 v[124:125], v[38:39], v[48:49]
	v_fma_f64 v[38:39], vcc, v[110:111], v[36:37]
	v_add_f64 v[138:139], v[38:39], v[60:61]
	v_mul_f64 v[38:39], v[114:115], vcc
	v_fma_f64 v[36:37], v[110:111], vcc, -v[36:37]
	v_add_f64 v[120:121], v[40:41], v[44:45]
	v_fma_f64 v[40:41], s[26:27], v[116:117], v[38:39]
	v_add_f64 v[142:143], v[36:37], v[58:59]
	v_fmac_f64_e32 v[38:39], s[24:25], v[116:117]
	v_mul_f64 v[36:37], v[118:119], s[16:17]
	v_add_f64 v[144:145], v[38:39], v[52:53]
	v_fma_f64 v[38:39], s[2:3], v[110:111], v[36:37]
	v_add_f64 v[146:147], v[38:39], v[54:55]
	v_mul_f64 v[38:39], v[114:115], s[2:3]
	v_add_f64 v[140:141], v[40:41], v[56:57]
	v_fma_f64 v[40:41], s[18:19], v[116:117], v[38:39]
	v_fma_f64 v[36:37], v[110:111], s[2:3], -v[36:37]
	v_fmac_f64_e32 v[38:39], s[16:17], v[116:117]
	v_add_f64 v[148:149], v[40:41], v[64:65]
	v_add_f64 v[150:151], v[36:37], v[66:67]
	v_add_f64 v[72:73], v[38:39], v[72:73]
	v_mul_f64 v[38:39], v[118:119], s[72:73]
	v_mul_f64 v[64:65], v[118:119], s[10:11]
	;; [unrolled: 1-line block ×3, first 2 shown]
	v_add_f64 v[62:63], v[50:51], v[62:63]
	v_fma_f64 v[36:37], s[14:15], v[110:111], v[38:39]
	v_mul_f64 v[40:41], v[114:115], s[14:15]
	v_fma_f64 v[58:59], s[12:13], v[110:111], v[64:65]
	v_fma_f64 v[60:61], s[4:5], v[116:117], v[66:67]
	v_fma_f64 v[64:65], v[110:111], s[12:13], -v[64:65]
	v_fmac_f64_e32 v[66:67], s[10:11], v[116:117]
	v_add_f64 v[74:75], v[36:37], v[74:75]
	v_fma_f64 v[36:37], s[20:21], v[116:117], v[40:41]
	v_add_f64 v[62:63], v[64:65], v[62:63]
	v_add_f64 v[64:65], v[66:67], v[70:71]
	;; [unrolled: 1-line block ×3, first 2 shown]
	v_add_f64 v[34:35], v[30:31], -v[34:35]
	v_add_f64 v[36:37], v[36:37], v[76:77]
	v_add_f64 v[66:67], v[28:29], v[32:33]
	v_add_f64 v[76:77], v[28:29], -v[32:33]
	v_mul_f64 v[28:29], v[34:35], s[26:27]
	v_fma_f64 v[38:39], v[110:111], s[14:15], -v[38:39]
	v_mul_f64 v[46:47], v[118:119], s[76:77]
	v_fma_f64 v[30:31], vcc, v[66:67], v[28:29]
	v_add_f64 v[38:39], v[38:39], v[78:79]
	v_fma_f64 v[42:43], s[6:7], v[110:111], v[46:47]
	v_mul_f64 v[48:49], v[114:115], s[6:7]
	v_add_f64 v[78:79], v[30:31], v[100:101]
	v_mul_f64 v[30:31], v[70:71], vcc
	v_fma_f64 v[28:29], v[66:67], vcc, -v[28:29]
	v_add_f64 v[42:43], v[42:43], v[82:83]
	v_fma_f64 v[44:45], s[30:31], v[116:117], v[48:49]
	v_fma_f64 v[32:33], s[24:25], v[76:77], v[30:31]
	v_add_f64 v[82:83], v[28:29], v[104:105]
	v_fmac_f64_e32 v[30:31], s[26:27], v[76:77]
	v_mul_f64 v[28:29], v[34:35], s[30:31]
	v_add_f64 v[44:45], v[44:45], v[84:85]
	v_fma_f64 v[46:47], v[110:111], s[6:7], -v[46:47]
	v_mul_f64 v[54:55], v[118:119], s[92:93]
	v_add_f64 v[84:85], v[30:31], v[106:107]
	v_fma_f64 v[30:31], s[6:7], v[66:67], v[28:29]
	v_fmac_f64_e32 v[40:41], s[72:73], v[116:117]
	v_add_f64 v[46:47], v[46:47], v[86:87]
	v_fma_f64 v[50:51], s[8:9], v[110:111], v[54:55]
	v_mul_f64 v[56:57], v[114:115], s[8:9]
	v_add_f64 v[86:87], v[30:31], v[108:109]
	v_mul_f64 v[30:31], v[70:71], s[6:7]
	v_fma_f64 v[28:29], v[66:67], s[6:7], -v[28:29]
	v_add_f64 v[40:41], v[40:41], v[80:81]
	v_add_f64 v[50:51], v[50:51], v[90:91]
	v_fma_f64 v[52:53], s[74:75], v[116:117], v[56:57]
	v_add_f64 v[80:81], v[32:33], v[102:103]
	v_fma_f64 v[32:33], s[76:77], v[76:77], v[30:31]
	v_add_f64 v[90:91], v[28:29], v[122:123]
	v_fmac_f64_e32 v[30:31], s[30:31], v[76:77]
	v_mul_f64 v[28:29], v[34:35], s[10:11]
	v_add_f64 v[52:53], v[52:53], v[92:93]
	v_fma_f64 v[54:55], v[110:111], s[8:9], -v[54:55]
	v_add_f64 v[92:93], v[30:31], v[124:125]
	v_fma_f64 v[30:31], s[12:13], v[66:67], v[28:29]
	v_fmac_f64_e32 v[48:49], s[76:77], v[116:117]
	v_add_f64 v[54:55], v[54:55], v[94:95]
	v_add_f64 v[94:95], v[30:31], v[138:139]
	v_mul_f64 v[30:31], v[70:71], s[12:13]
	v_fma_f64 v[28:29], v[66:67], s[12:13], -v[28:29]
	v_add_f64 v[48:49], v[48:49], v[88:89]
	v_add_f64 v[58:59], v[58:59], v[98:99]
	v_add_f64 v[88:89], v[32:33], v[120:121]
	v_fma_f64 v[32:33], s[4:5], v[76:77], v[30:31]
	v_add_f64 v[98:99], v[28:29], v[142:143]
	v_fmac_f64_e32 v[30:31], s[10:11], v[76:77]
	v_mul_f64 v[28:29], v[34:35], s[72:73]
	v_add_f64 v[100:101], v[30:31], v[144:145]
	v_fma_f64 v[30:31], s[14:15], v[66:67], v[28:29]
	v_fmac_f64_e32 v[56:57], s[92:93], v[116:117]
	v_add_f64 v[102:103], v[30:31], v[146:147]
	v_mul_f64 v[30:31], v[70:71], s[14:15]
	v_fma_f64 v[28:29], v[66:67], s[14:15], -v[28:29]
	v_add_f64 v[56:57], v[56:57], v[96:97]
	v_add_f64 v[96:97], v[32:33], v[140:141]
	v_fma_f64 v[32:33], s[20:21], v[76:77], v[30:31]
	v_add_f64 v[106:107], v[28:29], v[150:151]
	v_fmac_f64_e32 v[30:31], s[72:73], v[76:77]
	v_mul_f64 v[28:29], v[34:35], s[28:29]
	v_add_f64 v[72:73], v[30:31], v[72:73]
	v_fma_f64 v[30:31], s[22:23], v[66:67], v[28:29]
	v_add_f64 v[74:75], v[30:31], v[74:75]
	v_mul_f64 v[30:31], v[70:71], s[22:23]
	v_fma_f64 v[28:29], v[66:67], s[22:23], -v[28:29]
	v_add_f64 v[104:105], v[32:33], v[148:149]
	v_fma_f64 v[32:33], s[88:89], v[76:77], v[30:31]
	v_add_f64 v[110:111], v[28:29], v[38:39]
	v_fmac_f64_e32 v[30:31], s[28:29], v[76:77]
	v_mul_f64 v[28:29], v[34:35], s[34:35]
	v_add_f64 v[60:61], v[60:61], v[112:113]
	v_add_f64 v[112:113], v[30:31], v[40:41]
	v_fma_f64 v[30:31], s[90:91], v[66:67], v[28:29]
	v_add_f64 v[114:115], v[30:31], v[42:43]
	v_mul_f64 v[30:31], v[70:71], s[90:91]
	v_add_f64 v[108:109], v[32:33], v[36:37]
	v_fma_f64 v[32:33], s[0:1], v[76:77], v[30:31]
	v_fmac_f64_e32 v[30:31], s[34:35], v[76:77]
	v_fma_f64 v[28:29], v[66:67], s[90:91], -v[28:29]
	v_add_f64 v[118:119], v[30:31], v[48:49]
	v_mul_f64 v[30:31], v[34:35], s[18:19]
	v_add_f64 v[116:117], v[28:29], v[46:47]
	v_fma_f64 v[28:29], s[2:3], v[66:67], v[30:31]
	v_fma_f64 v[30:31], v[66:67], s[2:3], -v[30:31]
	v_add_f64 v[30:31], v[30:31], v[54:55]
	v_add_f64 v[54:55], v[22:23], v[26:27]
	v_mul_f64 v[38:39], v[34:35], s[74:75]
	v_add_f64 v[42:43], v[20:21], v[24:25]
	v_add_f64 v[20:21], v[20:21], -v[24:25]
	v_mul_f64 v[46:47], v[54:55], s[8:9]
	v_add_f64 v[44:45], v[32:33], v[44:45]
	v_mul_f64 v[32:33], v[70:71], s[2:3]
	v_fma_f64 v[34:35], s[8:9], v[66:67], v[38:39]
	v_add_f64 v[22:23], v[22:23], -v[26:27]
	v_fma_f64 v[48:49], s[92:93], v[20:21], v[46:47]
	v_fmac_f64_e32 v[46:47], s[74:75], v[20:21]
	v_add_f64 v[120:121], v[28:29], v[50:51]
	v_fma_f64 v[28:29], s[16:17], v[76:77], v[32:33]
	v_fmac_f64_e32 v[32:33], s[18:19], v[76:77]
	v_add_f64 v[34:35], v[34:35], v[58:59]
	v_mul_f64 v[40:41], v[70:71], s[8:9]
	v_add_f64 v[58:59], v[46:47], v[84:85]
	v_mul_f64 v[46:47], v[22:23], s[24:25]
	v_add_f64 v[32:33], v[32:33], v[56:57]
	v_fma_f64 v[36:37], s[92:93], v[76:77], v[40:41]
	v_add_f64 v[56:57], v[48:49], v[80:81]
	v_fma_f64 v[48:49], vcc, v[42:43], v[46:47]
	v_add_f64 v[36:37], v[36:37], v[60:61]
	v_fmac_f64_e32 v[40:41], s[74:75], v[76:77]
	v_add_f64 v[60:61], v[48:49], v[86:87]
	v_mul_f64 v[48:49], v[54:55], vcc
	v_fma_f64 v[46:47], v[42:43], vcc, -v[46:47]
	v_add_f64 v[40:41], v[40:41], v[64:65]
	v_fma_f64 v[50:51], s[26:27], v[20:21], v[48:49]
	v_add_f64 v[64:65], v[46:47], v[90:91]
	v_fmac_f64_e32 v[48:49], s[24:25], v[20:21]
	v_mul_f64 v[46:47], v[22:23], s[18:19]
	v_fma_f64 v[38:39], v[66:67], s[8:9], -v[38:39]
	v_add_f64 v[66:67], v[48:49], v[92:93]
	v_fma_f64 v[48:49], s[2:3], v[42:43], v[46:47]
	v_add_f64 v[70:71], v[48:49], v[94:95]
	v_mul_f64 v[48:49], v[54:55], s[2:3]
	v_fma_f64 v[46:47], v[42:43], s[2:3], -v[46:47]
	v_add_f64 v[38:39], v[38:39], v[62:63]
	v_add_f64 v[62:63], v[50:51], v[88:89]
	v_fma_f64 v[50:51], s[16:17], v[20:21], v[48:49]
	v_add_f64 v[84:85], v[46:47], v[98:99]
	v_fmac_f64_e32 v[48:49], s[18:19], v[20:21]
	v_mul_f64 v[46:47], v[22:23], s[76:77]
	v_add_f64 v[86:87], v[48:49], v[100:101]
	v_fma_f64 v[48:49], s[6:7], v[42:43], v[46:47]
	v_add_f64 v[88:89], v[48:49], v[102:103]
	v_mul_f64 v[48:49], v[54:55], s[6:7]
	v_fma_f64 v[46:47], v[42:43], s[6:7], -v[46:47]
	v_add_f64 v[76:77], v[50:51], v[96:97]
	v_fma_f64 v[50:51], s[30:31], v[20:21], v[48:49]
	v_add_f64 v[92:93], v[46:47], v[106:107]
	v_fmac_f64_e32 v[48:49], s[76:77], v[20:21]
	v_mul_f64 v[46:47], v[22:23], s[34:35]
	v_add_f64 v[72:73], v[48:49], v[72:73]
	v_fma_f64 v[48:49], s[90:91], v[42:43], v[46:47]
	v_add_f64 v[74:75], v[48:49], v[74:75]
	v_mul_f64 v[48:49], v[54:55], s[90:91]
	v_add_f64 v[90:91], v[50:51], v[104:105]
	v_fma_f64 v[50:51], s[0:1], v[20:21], v[48:49]
	v_fmac_f64_e32 v[48:49], s[34:35], v[20:21]
	v_fma_f64 v[46:47], v[42:43], s[90:91], -v[46:47]
	v_add_f64 v[98:99], v[48:49], v[112:113]
	v_mul_f64 v[48:49], v[22:23], s[4:5]
	v_add_f64 v[94:95], v[50:51], v[108:109]
	v_add_f64 v[96:97], v[46:47], v[110:111]
	v_fma_f64 v[46:47], s[12:13], v[42:43], v[48:49]
	v_mul_f64 v[50:51], v[54:55], s[12:13]
	v_add_f64 v[100:101], v[46:47], v[114:115]
	v_fma_f64 v[46:47], s[10:11], v[20:21], v[50:51]
	v_add_f64 v[46:47], v[46:47], v[44:45]
	v_fma_f64 v[44:45], v[42:43], s[12:13], -v[48:49]
	v_mul_f64 v[24:25], v[22:23], s[74:75]
	v_add_f64 v[48:49], v[44:45], v[116:117]
	v_mul_f64 v[44:45], v[22:23], s[28:29]
	v_add_f64 v[28:29], v[28:29], v[52:53]
	v_fma_f64 v[26:27], s[8:9], v[42:43], v[24:25]
	v_fma_f64 v[52:53], s[22:23], v[42:43], v[44:45]
	v_add_f64 v[122:123], v[14:15], -v[18:19]
	v_add_f64 v[26:27], v[26:27], v[78:79]
	v_fmac_f64_e32 v[50:51], s[4:5], v[20:21]
	v_add_f64 v[52:53], v[52:53], v[120:121]
	v_mul_f64 v[78:79], v[54:55], s[22:23]
	v_add_f64 v[116:117], v[12:13], v[16:17]
	v_add_f64 v[120:121], v[12:13], -v[16:17]
	v_mul_f64 v[12:13], v[122:123], s[76:77]
	v_add_f64 v[50:51], v[50:51], v[118:119]
	v_fma_f64 v[80:81], s[88:89], v[20:21], v[78:79]
	v_add_f64 v[118:119], v[14:15], v[18:19]
	v_fma_f64 v[14:15], s[6:7], v[116:117], v[12:13]
	v_fma_f64 v[24:25], v[42:43], s[8:9], -v[24:25]
	v_add_f64 v[102:103], v[80:81], v[28:29]
	v_fma_f64 v[28:29], v[42:43], s[22:23], -v[44:45]
	v_mul_f64 v[22:23], v[22:23], s[20:21]
	v_add_f64 v[124:125], v[14:15], v[26:27]
	v_mul_f64 v[14:15], v[118:119], s[6:7]
	v_add_f64 v[24:25], v[24:25], v[82:83]
	v_add_f64 v[104:105], v[28:29], v[30:31]
	v_fmac_f64_e32 v[78:79], s[28:29], v[20:21]
	v_fma_f64 v[28:29], s[14:15], v[42:43], v[22:23]
	v_fma_f64 v[16:17], s[30:31], v[120:121], v[14:15]
	v_fma_f64 v[12:13], v[116:117], s[6:7], -v[12:13]
	v_add_f64 v[106:107], v[78:79], v[32:33]
	v_add_f64 v[108:109], v[28:29], v[34:35]
	v_mul_f64 v[28:29], v[54:55], s[14:15]
	v_add_f64 v[82:83], v[16:17], v[56:57]
	v_add_f64 v[78:79], v[12:13], v[24:25]
	v_fmac_f64_e32 v[14:15], s[76:77], v[120:121]
	v_mul_f64 v[16:17], v[122:123], s[20:21]
	v_mul_f64 v[24:25], v[122:123], s[0:1]
	v_fma_f64 v[30:31], s[72:73], v[20:21], v[28:29]
	v_fma_f64 v[22:23], v[42:43], s[14:15], -v[22:23]
	v_fmac_f64_e32 v[28:29], s[20:21], v[20:21]
	v_add_f64 v[12:13], v[14:15], v[58:59]
	v_fma_f64 v[14:15], s[14:15], v[116:117], v[16:17]
	v_mul_f64 v[18:19], v[118:119], s[14:15]
	v_fma_f64 v[16:17], v[116:117], s[14:15], -v[16:17]
	v_fma_f64 v[20:21], s[90:91], v[116:117], v[24:25]
	v_mul_f64 v[26:27], v[118:119], s[90:91]
	v_add_f64 v[112:113], v[22:23], v[38:39]
	v_add_f64 v[114:115], v[28:29], v[40:41]
	;; [unrolled: 1-line block ×3, first 2 shown]
	v_fma_f64 v[14:15], s[72:73], v[120:121], v[18:19]
	v_add_f64 v[16:17], v[16:17], v[64:65]
	v_add_f64 v[20:21], v[20:21], v[70:71]
	v_fma_f64 v[22:23], s[34:35], v[120:121], v[26:27]
	v_mul_f64 v[34:35], v[118:119], s[8:9]
	v_mul_f64 v[40:41], v[122:123], s[18:19]
	;; [unrolled: 1-line block ×3, first 2 shown]
	v_mul_f64 v[70:71], v[118:119], vcc
	v_add_f64 v[110:111], v[30:31], v[36:37]
	v_add_f64 v[14:15], v[14:15], v[62:63]
	v_fmac_f64_e32 v[18:19], s[20:21], v[120:121]
	v_add_f64 v[22:23], v[22:23], v[76:77]
	v_fma_f64 v[30:31], s[74:75], v[120:121], v[34:35]
	v_fmac_f64_e32 v[34:35], s[92:93], v[120:121]
	v_fma_f64 v[36:37], s[2:3], v[116:117], v[40:41]
	v_fma_f64 v[60:61], vcc, v[116:117], v[64:65]
	v_fma_f64 v[62:63], s[24:25], v[120:121], v[70:71]
	v_fma_f64 v[64:65], v[116:117], vcc, -v[64:65]
	v_fmac_f64_e32 v[70:71], s[26:27], v[120:121]
	v_add_f64 v[76:77], v[6:7], -v[10:11]
	v_add_f64 v[18:19], v[18:19], v[66:67]
	v_add_f64 v[34:35], v[34:35], v[72:73]
	v_add_f64 v[36:37], v[36:37], v[74:75]
	v_add_f64 v[66:67], v[64:65], v[112:113]
	v_add_f64 v[64:65], v[70:71], v[114:115]
	v_add_f64 v[70:71], v[4:5], v[8:9]
	v_add_f64 v[74:75], v[6:7], v[10:11]
	v_add_f64 v[72:73], v[4:5], -v[8:9]
	v_mul_f64 v[8:9], v[76:77], s[28:29]
	v_fma_f64 v[4:5], s[22:23], v[70:71], v[8:9]
	v_mul_f64 v[10:11], v[74:75], s[22:23]
	v_fma_f64 v[8:9], v[70:71], s[22:23], -v[8:9]
	v_fma_f64 v[6:7], s[88:89], v[72:73], v[10:11]
	v_add_f64 v[8:9], v[8:9], v[78:79]
	v_fmac_f64_e32 v[10:11], s[28:29], v[72:73]
	v_mul_f64 v[78:79], v[76:77], s[16:17]
	v_add_f64 v[10:11], v[10:11], v[12:13]
	v_fma_f64 v[12:13], s[2:3], v[70:71], v[78:79]
	v_add_f64 v[12:13], v[12:13], v[80:81]
	v_mul_f64 v[80:81], v[74:75], s[2:3]
	v_fma_f64 v[78:79], v[70:71], s[2:3], -v[78:79]
	v_add_f64 v[6:7], v[6:7], v[82:83]
	v_fma_f64 v[82:83], s[18:19], v[72:73], v[80:81]
	v_add_f64 v[16:17], v[78:79], v[16:17]
	v_fmac_f64_e32 v[80:81], s[16:17], v[72:73]
	v_mul_f64 v[78:79], v[76:77], s[76:77]
	v_fma_f64 v[24:25], v[116:117], s[90:91], -v[24:25]
	v_add_f64 v[18:19], v[80:81], v[18:19]
	v_fma_f64 v[80:81], s[6:7], v[70:71], v[78:79]
	v_add_f64 v[24:25], v[24:25], v[84:85]
	v_fmac_f64_e32 v[26:27], s[0:1], v[120:121]
	v_mul_f64 v[32:33], v[122:123], s[92:93]
	v_add_f64 v[20:21], v[80:81], v[20:21]
	v_mul_f64 v[80:81], v[74:75], s[6:7]
	v_fma_f64 v[78:79], v[70:71], s[6:7], -v[78:79]
	v_add_f64 v[26:27], v[26:27], v[86:87]
	v_fma_f64 v[28:29], s[8:9], v[116:117], v[32:33]
	v_add_f64 v[14:15], v[82:83], v[14:15]
	v_fma_f64 v[82:83], s[30:31], v[72:73], v[80:81]
	v_add_f64 v[24:25], v[78:79], v[24:25]
	v_fmac_f64_e32 v[80:81], s[76:77], v[72:73]
	v_mul_f64 v[78:79], v[76:77], s[10:11]
	v_add_f64 v[28:29], v[28:29], v[88:89]
	v_fma_f64 v[32:33], v[116:117], s[8:9], -v[32:33]
	v_add_f64 v[26:27], v[80:81], v[26:27]
	v_fma_f64 v[80:81], s[12:13], v[70:71], v[78:79]
	v_add_f64 v[32:33], v[32:33], v[92:93]
	v_add_f64 v[28:29], v[80:81], v[28:29]
	v_mul_f64 v[80:81], v[74:75], s[12:13]
	v_fma_f64 v[78:79], v[70:71], s[12:13], -v[78:79]
	v_add_f64 v[22:23], v[82:83], v[22:23]
	v_fma_f64 v[82:83], s[4:5], v[72:73], v[80:81]
	v_add_f64 v[32:33], v[78:79], v[32:33]
	v_fmac_f64_e32 v[80:81], s[10:11], v[72:73]
	v_mul_f64 v[78:79], v[76:77], s[74:75]
	v_mul_f64 v[42:43], v[118:119], s[2:3]
	v_fma_f64 v[40:41], v[116:117], s[2:3], -v[40:41]
	v_add_f64 v[34:35], v[80:81], v[34:35]
	v_fma_f64 v[80:81], s[8:9], v[70:71], v[78:79]
	v_add_f64 v[30:31], v[30:31], v[90:91]
	v_fma_f64 v[38:39], s[16:17], v[120:121], v[42:43]
	v_add_f64 v[40:41], v[40:41], v[96:97]
	v_fmac_f64_e32 v[42:43], s[18:19], v[120:121]
	v_mul_f64 v[54:55], v[122:123], s[28:29]
	v_add_f64 v[36:37], v[80:81], v[36:37]
	v_mul_f64 v[80:81], v[74:75], s[8:9]
	v_fma_f64 v[78:79], v[70:71], s[8:9], -v[78:79]
	v_add_f64 v[42:43], v[42:43], v[98:99]
	v_fma_f64 v[44:45], s[22:23], v[116:117], v[54:55]
	v_mul_f64 v[56:57], v[118:119], s[22:23]
	v_add_f64 v[30:31], v[82:83], v[30:31]
	v_fma_f64 v[82:83], s[92:93], v[72:73], v[80:81]
	v_add_f64 v[40:41], v[78:79], v[40:41]
	v_fmac_f64_e32 v[80:81], s[74:75], v[72:73]
	v_mul_f64 v[78:79], v[76:77], s[20:21]
	v_add_f64 v[44:45], v[44:45], v[100:101]
	v_fma_f64 v[58:59], s[88:89], v[120:121], v[56:57]
	v_fma_f64 v[54:55], v[116:117], s[22:23], -v[54:55]
	v_fmac_f64_e32 v[56:57], s[28:29], v[120:121]
	v_add_f64 v[42:43], v[80:81], v[42:43]
	v_fma_f64 v[80:81], s[14:15], v[70:71], v[78:79]
	v_add_f64 v[38:39], v[38:39], v[94:95]
	v_add_f64 v[48:49], v[54:55], v[48:49]
	;; [unrolled: 1-line block ×3, first 2 shown]
	v_mul_f64 v[56:57], v[122:123], s[10:11]
	v_add_f64 v[44:45], v[80:81], v[44:45]
	v_mul_f64 v[80:81], v[74:75], s[14:15]
	v_fma_f64 v[78:79], v[70:71], s[14:15], -v[78:79]
	v_fma_f64 v[54:55], s[12:13], v[116:117], v[56:57]
	v_fma_f64 v[56:57], v[116:117], s[12:13], -v[56:57]
	v_add_f64 v[38:39], v[82:83], v[38:39]
	v_fma_f64 v[82:83], s[72:73], v[72:73], v[80:81]
	v_add_f64 v[48:49], v[78:79], v[48:49]
	v_fmac_f64_e32 v[80:81], s[20:21], v[72:73]
	v_mul_f64 v[78:79], v[76:77], s[26:27]
	v_add_f64 v[46:47], v[58:59], v[46:47]
	v_add_f64 v[52:53], v[54:55], v[52:53]
	v_mul_f64 v[58:59], v[118:119], s[12:13]
	v_add_f64 v[56:57], v[56:57], v[104:105]
	v_add_f64 v[50:51], v[80:81], v[50:51]
	v_fma_f64 v[80:81], vcc, v[70:71], v[78:79]
	v_fma_f64 v[78:79], v[70:71], vcc, -v[78:79]
	v_mul_f64 v[76:77], v[76:77], s[34:35]
	v_fma_f64 v[54:55], s[4:5], v[120:121], v[58:59]
	v_fmac_f64_e32 v[58:59], s[10:11], v[120:121]
	v_add_f64 v[60:61], v[60:61], v[108:109]
	v_add_f64 v[52:53], v[80:81], v[52:53]
	v_mul_f64 v[80:81], v[74:75], vcc
	v_add_f64 v[56:57], v[78:79], v[56:57]
	v_fma_f64 v[78:79], s[90:91], v[70:71], v[76:77]
	v_mul_f64 v[74:75], v[74:75], s[90:91]
	v_add_f64 v[54:55], v[54:55], v[102:103]
	v_add_f64 v[58:59], v[58:59], v[106:107]
	;; [unrolled: 1-line block ×5, first 2 shown]
	v_fma_f64 v[82:83], s[24:25], v[72:73], v[80:81]
	v_fmac_f64_e32 v[80:81], s[26:27], v[72:73]
	v_add_f64 v[60:61], v[78:79], v[60:61]
	v_fma_f64 v[78:79], s[0:1], v[72:73], v[74:75]
	v_fma_f64 v[70:71], v[70:71], s[90:91], -v[76:77]
	v_fmac_f64_e32 v[74:75], s[34:35], v[72:73]
	v_add_f64 v[54:55], v[82:83], v[54:55]
	v_add_f64 v[58:59], v[80:81], v[58:59]
	;; [unrolled: 1-line block ×5, first 2 shown]
	ds_write_b128 v126, v[0:3]
	ds_write_b128 v126, v[4:7] offset:16
	ds_write_b128 v126, v[12:15] offset:32
	;; [unrolled: 1-line block ×16, first 2 shown]
	s_waitcnt lgkmcnt(0)
	s_barrier
	ds_read_b128 v[0:3], v126
	ds_read_b128 v[4:7], v126 offset:16
	ds_read_b128 v[8:11], v126 offset:32
	;; [unrolled: 1-line block ×3, first 2 shown]
	s_mov_b32 s0, 0x1e1e1e1e
	s_waitcnt lgkmcnt(3)
	v_mul_f64 v[16:17], s[38:39], v[2:3]
	v_fmac_f64_e32 v[16:17], s[36:37], v[0:1]
	v_mul_f64 v[0:1], s[38:39], v[0:1]
	s_mov_b32 s1, 0x3fae1e1e
	v_fma_f64 v[0:1], s[36:37], v[2:3], -v[0:1]
	v_readlane_b32 s2, v137, 0
	v_mul_f64 v[18:19], v[0:1], s[0:1]
	v_lshlrev_b64 v[0:1], 4, v[68:69]
	v_readlane_b32 s3, v137, 1
	v_add_co_u32_e32 v0, vcc, s2, v0
	v_mov_b32_e32 v2, s3
	v_readlane_b32 s20, v137, 2
	v_addc_co_u32_e32 v1, vcc, v2, v1, vcc
	s_waitcnt lgkmcnt(2)
	v_mul_f64 v[2:3], s[42:43], v[6:7]
	v_readlane_b32 s21, v137, 3
	v_fmac_f64_e32 v[2:3], s[40:41], v[4:5]
	v_mul_f64 v[4:5], s[42:43], v[4:5]
	s_lshl_b64 s[2:3], s[20:21], 4
	v_fma_f64 v[4:5], s[40:41], v[6:7], -v[4:5]
	v_add_co_u32_e32 v6, vcc, s2, v0
	v_mov_b32_e32 v7, s3
	v_mul_f64 v[16:17], v[16:17], s[0:1]
	v_mul_f64 v[2:3], v[2:3], s[0:1]
	;; [unrolled: 1-line block ×3, first 2 shown]
	v_addc_co_u32_e32 v7, vcc, v1, v7, vcc
	global_store_dwordx4 v[0:1], v[16:19], off
	global_store_dwordx4 v[6:7], v[2:5], off
	s_lshl_b64 s[2:3], s[20:21], 5
	s_waitcnt lgkmcnt(1)
	v_mul_f64 v[2:3], s[46:47], v[10:11]
	v_mul_f64 v[4:5], s[46:47], v[8:9]
	v_fmac_f64_e32 v[2:3], s[44:45], v[8:9]
	v_fma_f64 v[4:5], s[44:45], v[10:11], -v[4:5]
	v_add_co_u32_e32 v6, vcc, s2, v0
	v_mov_b32_e32 v7, s3
	v_mul_f64 v[2:3], v[2:3], s[0:1]
	v_mul_f64 v[4:5], v[4:5], s[0:1]
	v_addc_co_u32_e32 v7, vcc, v1, v7, vcc
	global_store_dwordx4 v[6:7], v[2:5], off
	v_mad_u64_u32 v[6:7], s[2:3], s20, 48, v[0:1]
	s_waitcnt lgkmcnt(0)
	v_mul_f64 v[2:3], s[50:51], v[14:15]
	v_mul_f64 v[4:5], s[50:51], v[12:13]
	v_mov_b32_e32 v8, v7
	v_fmac_f64_e32 v[2:3], s[48:49], v[12:13]
	v_fma_f64 v[4:5], s[48:49], v[14:15], -v[4:5]
	v_mad_u64_u32 v[8:9], s[2:3], s21, 48, v[8:9]
	v_mul_f64 v[2:3], v[2:3], s[0:1]
	v_mul_f64 v[4:5], v[4:5], s[0:1]
	v_mov_b32_e32 v7, v8
	global_store_dwordx4 v[6:7], v[2:5], off
	ds_read_b128 v[2:5], v126 offset:64
	v_readlane_b32 s4, v137, 6
	v_readlane_b32 s6, v137, 8
	;; [unrolled: 1-line block ×4, first 2 shown]
	s_waitcnt lgkmcnt(0)
	v_mul_f64 v[6:7], s[6:7], v[4:5]
	v_fmac_f64_e32 v[6:7], s[4:5], v[2:3]
	v_mul_f64 v[2:3], s[6:7], v[2:3]
	v_fma_f64 v[2:3], s[4:5], v[4:5], -v[2:3]
	s_lshl_b64 s[2:3], s[20:21], 6
	v_mul_f64 v[8:9], v[2:3], s[0:1]
	v_add_co_u32_e32 v2, vcc, s2, v0
	v_mov_b32_e32 v3, s3
	v_mul_f64 v[6:7], v[6:7], s[0:1]
	v_addc_co_u32_e32 v3, vcc, v1, v3, vcc
	global_store_dwordx4 v[2:3], v[6:9], off
	ds_read_b128 v[2:5], v126 offset:80
	v_readlane_b32 s8, v137, 10
	v_readlane_b32 s9, v137, 11
	;; [unrolled: 1-line block ×12, first 2 shown]
	s_mov_b64 s[4:5], s[8:9]
	s_mov_b64 s[6:7], s[10:11]
	s_waitcnt lgkmcnt(0)
	v_mul_f64 v[6:7], s[6:7], v[4:5]
	v_fmac_f64_e32 v[6:7], s[4:5], v[2:3]
	v_mul_f64 v[2:3], s[6:7], v[2:3]
	v_fma_f64 v[2:3], s[4:5], v[4:5], -v[2:3]
	v_mul_f64 v[8:9], v[2:3], s[0:1]
	v_mad_u64_u32 v[2:3], s[2:3], s20, v128, v[0:1]
	s_mul_i32 s2, s21, 0x50
	v_mul_f64 v[6:7], v[6:7], s[0:1]
	v_add_u32_e32 v3, s2, v3
	global_store_dwordx4 v[2:3], v[6:9], off
	ds_read_b128 v[2:5], v126 offset:96
	s_mov_b64 s[8:9], s[12:13]
	s_mov_b64 s[10:11], s[14:15]
	;; [unrolled: 1-line block ×4, first 2 shown]
	s_waitcnt lgkmcnt(0)
	v_mul_f64 v[6:7], s[10:11], v[4:5]
	v_fmac_f64_e32 v[6:7], s[8:9], v[2:3]
	v_mul_f64 v[2:3], s[10:11], v[2:3]
	v_fma_f64 v[2:3], s[8:9], v[4:5], -v[2:3]
	v_mul_f64 v[8:9], v[2:3], s[0:1]
	v_mad_u64_u32 v[2:3], s[2:3], s20, v130, v[0:1]
	s_mul_i32 s2, s21, 0x60
	v_mul_f64 v[6:7], v[6:7], s[0:1]
	v_add_u32_e32 v3, s2, v3
	global_store_dwordx4 v[2:3], v[6:9], off
	ds_read_b128 v[2:5], v126 offset:112
	v_readlane_b32 s22, v137, 4
	v_readlane_b32 s23, v137, 5
	s_waitcnt lgkmcnt(0)
	v_mul_f64 v[6:7], s[14:15], v[4:5]
	v_fmac_f64_e32 v[6:7], s[12:13], v[2:3]
	v_mul_f64 v[2:3], s[14:15], v[2:3]
	v_fma_f64 v[2:3], s[12:13], v[4:5], -v[2:3]
	v_mul_f64 v[8:9], v[2:3], s[0:1]
	v_mad_u64_u32 v[2:3], s[2:3], s20, v127, v[0:1]
	s_mul_i32 s2, s21, 0x70
	v_mul_f64 v[6:7], v[6:7], s[0:1]
	v_add_u32_e32 v3, s2, v3
	global_store_dwordx4 v[2:3], v[6:9], off
	ds_read_b128 v[2:5], v126 offset:128
	v_readlane_b32 s4, v137, 22
	v_readlane_b32 s6, v137, 24
	;; [unrolled: 1-line block ×4, first 2 shown]
	s_waitcnt lgkmcnt(0)
	v_mul_f64 v[6:7], s[6:7], v[4:5]
	v_fmac_f64_e32 v[6:7], s[4:5], v[2:3]
	v_mul_f64 v[2:3], s[6:7], v[2:3]
	v_fma_f64 v[2:3], s[4:5], v[4:5], -v[2:3]
	s_lshl_b64 s[2:3], s[20:21], 7
	v_mul_f64 v[8:9], v[2:3], s[0:1]
	v_add_co_u32_e32 v2, vcc, s2, v0
	v_mov_b32_e32 v3, s3
	v_mul_f64 v[6:7], v[6:7], s[0:1]
	v_addc_co_u32_e32 v3, vcc, v1, v3, vcc
	global_store_dwordx4 v[2:3], v[6:9], off
	ds_read_b128 v[2:5], v126 offset:144
	v_readlane_b32 s8, v137, 26
	v_readlane_b32 s9, v137, 27
	v_readlane_b32 s10, v137, 28
	v_readlane_b32 s11, v137, 29
	v_readlane_b32 s12, v137, 30
	v_readlane_b32 s13, v137, 31
	v_readlane_b32 s14, v137, 32
	v_readlane_b32 s15, v137, 33
	v_readlane_b32 s16, v137, 34
	v_readlane_b32 s17, v137, 35
	v_readlane_b32 s18, v137, 36
	v_readlane_b32 s19, v137, 37
	s_mov_b64 s[4:5], s[8:9]
	s_mov_b64 s[6:7], s[10:11]
	s_waitcnt lgkmcnt(0)
	v_mul_f64 v[6:7], s[6:7], v[4:5]
	v_fmac_f64_e32 v[6:7], s[4:5], v[2:3]
	v_mul_f64 v[2:3], s[6:7], v[2:3]
	v_fma_f64 v[2:3], s[4:5], v[4:5], -v[2:3]
	v_mul_f64 v[8:9], v[2:3], s[0:1]
	v_mad_u64_u32 v[2:3], s[2:3], s20, v131, v[0:1]
	s_mul_i32 s2, s21, 0x90
	v_mul_f64 v[6:7], v[6:7], s[0:1]
	v_add_u32_e32 v3, s2, v3
	global_store_dwordx4 v[2:3], v[6:9], off
	ds_read_b128 v[2:5], v126 offset:160
	s_mov_b64 s[8:9], s[12:13]
	s_mov_b64 s[10:11], s[14:15]
	;; [unrolled: 1-line block ×4, first 2 shown]
	s_waitcnt lgkmcnt(0)
	v_mul_f64 v[6:7], s[10:11], v[4:5]
	v_fmac_f64_e32 v[6:7], s[8:9], v[2:3]
	v_mul_f64 v[2:3], s[10:11], v[2:3]
	v_fma_f64 v[2:3], s[8:9], v[4:5], -v[2:3]
	v_mul_f64 v[8:9], v[2:3], s[0:1]
	v_mad_u64_u32 v[2:3], s[2:3], s20, v132, v[0:1]
	s_mul_i32 s2, s21, 0xa0
	v_mul_f64 v[6:7], v[6:7], s[0:1]
	v_add_u32_e32 v3, s2, v3
	global_store_dwordx4 v[2:3], v[6:9], off
	ds_read_b128 v[2:5], v126 offset:176
	s_mov_b64 s[4:5], s[20:21]
	s_waitcnt lgkmcnt(0)
	v_mul_f64 v[6:7], s[14:15], v[4:5]
	v_fmac_f64_e32 v[6:7], s[12:13], v[2:3]
	v_mul_f64 v[2:3], s[14:15], v[2:3]
	v_fma_f64 v[2:3], s[12:13], v[4:5], -v[2:3]
	v_mul_f64 v[8:9], v[2:3], s[0:1]
	v_mad_u64_u32 v[2:3], s[2:3], s4, v129, v[0:1]
	s_mul_i32 s2, s5, 0xb0
	v_mul_f64 v[6:7], v[6:7], s[0:1]
	v_add_u32_e32 v3, s2, v3
	global_store_dwordx4 v[2:3], v[6:9], off
	ds_read_b128 v[2:5], v126 offset:192
	s_waitcnt lgkmcnt(0)
	v_mul_f64 v[6:7], s[54:55], v[4:5]
	v_fmac_f64_e32 v[6:7], s[52:53], v[2:3]
	v_mul_f64 v[2:3], s[54:55], v[2:3]
	v_fma_f64 v[2:3], s[52:53], v[4:5], -v[2:3]
	v_mul_f64 v[8:9], v[2:3], s[0:1]
	v_mad_u64_u32 v[2:3], s[2:3], s4, v134, v[0:1]
	s_mul_i32 s2, s5, 0xc0
	v_mul_f64 v[6:7], v[6:7], s[0:1]
	v_add_u32_e32 v3, s2, v3
	global_store_dwordx4 v[2:3], v[6:9], off
	ds_read_b128 v[2:5], v126 offset:208
	;; [unrolled: 12-line block ×5, first 2 shown]
	s_waitcnt lgkmcnt(0)
	v_mul_f64 v[6:7], s[70:71], v[4:5]
	v_fmac_f64_e32 v[6:7], s[68:69], v[2:3]
	v_mul_f64 v[2:3], s[70:71], v[2:3]
	v_fma_f64 v[2:3], s[68:69], v[4:5], -v[2:3]
	v_mul_f64 v[6:7], v[6:7], s[0:1]
	v_mul_f64 v[8:9], v[2:3], s[0:1]
	s_lshl_b64 s[0:1], s[20:21], 8
	v_add_co_u32_e32 v0, vcc, s0, v0
	v_mov_b32_e32 v2, s1
	v_addc_co_u32_e32 v1, vcc, v1, v2, vcc
	global_store_dwordx4 v[0:1], v[6:9], off
.LBB0_2:
	s_endpgm
	.section	.rodata,"a",@progbits
	.p2align	6, 0x0
	.amdhsa_kernel bluestein_single_back_len17_dim1_dp_op_CI_CI
		.amdhsa_group_segment_fixed_size 32640
		.amdhsa_private_segment_fixed_size 0
		.amdhsa_kernarg_size 104
		.amdhsa_user_sgpr_count 6
		.amdhsa_user_sgpr_private_segment_buffer 1
		.amdhsa_user_sgpr_dispatch_ptr 0
		.amdhsa_user_sgpr_queue_ptr 0
		.amdhsa_user_sgpr_kernarg_segment_ptr 1
		.amdhsa_user_sgpr_dispatch_id 0
		.amdhsa_user_sgpr_flat_scratch_init 0
		.amdhsa_user_sgpr_kernarg_preload_length 0
		.amdhsa_user_sgpr_kernarg_preload_offset 0
		.amdhsa_user_sgpr_private_segment_size 0
		.amdhsa_uses_dynamic_stack 0
		.amdhsa_system_sgpr_private_segment_wavefront_offset 0
		.amdhsa_system_sgpr_workgroup_id_x 1
		.amdhsa_system_sgpr_workgroup_id_y 0
		.amdhsa_system_sgpr_workgroup_id_z 0
		.amdhsa_system_sgpr_workgroup_info 0
		.amdhsa_system_vgpr_workitem_id 0
		.amdhsa_next_free_vgpr 152
		.amdhsa_next_free_sgpr 96
		.amdhsa_accum_offset 152
		.amdhsa_reserve_vcc 1
		.amdhsa_reserve_flat_scratch 0
		.amdhsa_float_round_mode_32 0
		.amdhsa_float_round_mode_16_64 0
		.amdhsa_float_denorm_mode_32 3
		.amdhsa_float_denorm_mode_16_64 3
		.amdhsa_dx10_clamp 1
		.amdhsa_ieee_mode 1
		.amdhsa_fp16_overflow 0
		.amdhsa_tg_split 0
		.amdhsa_exception_fp_ieee_invalid_op 0
		.amdhsa_exception_fp_denorm_src 0
		.amdhsa_exception_fp_ieee_div_zero 0
		.amdhsa_exception_fp_ieee_overflow 0
		.amdhsa_exception_fp_ieee_underflow 0
		.amdhsa_exception_fp_ieee_inexact 0
		.amdhsa_exception_int_div_zero 0
	.end_amdhsa_kernel
	.text
.Lfunc_end0:
	.size	bluestein_single_back_len17_dim1_dp_op_CI_CI, .Lfunc_end0-bluestein_single_back_len17_dim1_dp_op_CI_CI
                                        ; -- End function
	.section	.AMDGPU.csdata,"",@progbits
; Kernel info:
; codeLenInByte = 16348
; NumSgprs: 100
; NumVgprs: 152
; NumAgprs: 0
; TotalNumVgprs: 152
; ScratchSize: 0
; MemoryBound: 0
; FloatMode: 240
; IeeeMode: 1
; LDSByteSize: 32640 bytes/workgroup (compile time only)
; SGPRBlocks: 12
; VGPRBlocks: 18
; NumSGPRsForWavesPerEU: 100
; NumVGPRsForWavesPerEU: 152
; AccumOffset: 152
; Occupancy: 1
; WaveLimiterHint : 1
; COMPUTE_PGM_RSRC2:SCRATCH_EN: 0
; COMPUTE_PGM_RSRC2:USER_SGPR: 6
; COMPUTE_PGM_RSRC2:TRAP_HANDLER: 0
; COMPUTE_PGM_RSRC2:TGID_X_EN: 1
; COMPUTE_PGM_RSRC2:TGID_Y_EN: 0
; COMPUTE_PGM_RSRC2:TGID_Z_EN: 0
; COMPUTE_PGM_RSRC2:TIDIG_COMP_CNT: 0
; COMPUTE_PGM_RSRC3_GFX90A:ACCUM_OFFSET: 37
; COMPUTE_PGM_RSRC3_GFX90A:TG_SPLIT: 0
	.text
	.p2alignl 6, 3212836864
	.fill 256, 4, 3212836864
	.type	__hip_cuid_1f475413bcfc9bc1,@object ; @__hip_cuid_1f475413bcfc9bc1
	.section	.bss,"aw",@nobits
	.globl	__hip_cuid_1f475413bcfc9bc1
__hip_cuid_1f475413bcfc9bc1:
	.byte	0                               ; 0x0
	.size	__hip_cuid_1f475413bcfc9bc1, 1

	.ident	"AMD clang version 19.0.0git (https://github.com/RadeonOpenCompute/llvm-project roc-6.4.0 25133 c7fe45cf4b819c5991fe208aaa96edf142730f1d)"
	.section	".note.GNU-stack","",@progbits
	.addrsig
	.addrsig_sym __hip_cuid_1f475413bcfc9bc1
	.amdgpu_metadata
---
amdhsa.kernels:
  - .agpr_count:     0
    .args:
      - .actual_access:  read_only
        .address_space:  global
        .offset:         0
        .size:           8
        .value_kind:     global_buffer
      - .actual_access:  read_only
        .address_space:  global
        .offset:         8
        .size:           8
        .value_kind:     global_buffer
      - .actual_access:  read_only
        .address_space:  global
        .offset:         16
        .size:           8
        .value_kind:     global_buffer
      - .actual_access:  read_only
        .address_space:  global
        .offset:         24
        .size:           8
        .value_kind:     global_buffer
      - .actual_access:  read_only
        .address_space:  global
        .offset:         32
        .size:           8
        .value_kind:     global_buffer
      - .offset:         40
        .size:           8
        .value_kind:     by_value
      - .address_space:  global
        .offset:         48
        .size:           8
        .value_kind:     global_buffer
      - .address_space:  global
        .offset:         56
        .size:           8
        .value_kind:     global_buffer
      - .address_space:  global
        .offset:         64
        .size:           8
        .value_kind:     global_buffer
      - .address_space:  global
        .offset:         72
        .size:           8
        .value_kind:     global_buffer
      - .offset:         80
        .size:           4
        .value_kind:     by_value
      - .address_space:  global
        .offset:         88
        .size:           8
        .value_kind:     global_buffer
      - .address_space:  global
        .offset:         96
        .size:           8
        .value_kind:     global_buffer
    .group_segment_fixed_size: 32640
    .kernarg_segment_align: 8
    .kernarg_segment_size: 104
    .language:       OpenCL C
    .language_version:
      - 2
      - 0
    .max_flat_workgroup_size: 120
    .name:           bluestein_single_back_len17_dim1_dp_op_CI_CI
    .private_segment_fixed_size: 0
    .sgpr_count:     100
    .sgpr_spill_count: 38
    .symbol:         bluestein_single_back_len17_dim1_dp_op_CI_CI.kd
    .uniform_work_group_size: 1
    .uses_dynamic_stack: false
    .vgpr_count:     152
    .vgpr_spill_count: 0
    .wavefront_size: 64
amdhsa.target:   amdgcn-amd-amdhsa--gfx90a
amdhsa.version:
  - 1
  - 2
...

	.end_amdgpu_metadata
